;; amdgpu-corpus repo=ROCm/rocFFT kind=compiled arch=gfx1100 opt=O3
	.text
	.amdgcn_target "amdgcn-amd-amdhsa--gfx1100"
	.amdhsa_code_object_version 6
	.protected	fft_rtc_fwd_len2700_factors_3_10_10_3_3_wgs_90_tpt_90_halfLds_dp_op_CI_CI_unitstride_sbrr_dirReg ; -- Begin function fft_rtc_fwd_len2700_factors_3_10_10_3_3_wgs_90_tpt_90_halfLds_dp_op_CI_CI_unitstride_sbrr_dirReg
	.globl	fft_rtc_fwd_len2700_factors_3_10_10_3_3_wgs_90_tpt_90_halfLds_dp_op_CI_CI_unitstride_sbrr_dirReg
	.p2align	8
	.type	fft_rtc_fwd_len2700_factors_3_10_10_3_3_wgs_90_tpt_90_halfLds_dp_op_CI_CI_unitstride_sbrr_dirReg,@function
fft_rtc_fwd_len2700_factors_3_10_10_3_3_wgs_90_tpt_90_halfLds_dp_op_CI_CI_unitstride_sbrr_dirReg: ; @fft_rtc_fwd_len2700_factors_3_10_10_3_3_wgs_90_tpt_90_halfLds_dp_op_CI_CI_unitstride_sbrr_dirReg
; %bb.0:
	s_clause 0x2
	s_load_b128 s[8:11], s[0:1], 0x0
	s_load_b128 s[4:7], s[0:1], 0x58
	;; [unrolled: 1-line block ×3, first 2 shown]
	v_mul_u32_u24_e32 v1, 0x2d9, v0
	v_mov_b32_e32 v3, 0
	s_delay_alu instid0(VALU_DEP_2) | instskip(NEXT) | instid1(VALU_DEP_1)
	v_lshrrev_b32_e32 v1, 16, v1
	v_add_nc_u32_e32 v5, s15, v1
	v_mov_b32_e32 v1, 0
	v_mov_b32_e32 v2, 0
	;; [unrolled: 1-line block ×3, first 2 shown]
	s_waitcnt lgkmcnt(0)
	v_cmp_lt_u64_e64 s2, s[10:11], 2
	s_delay_alu instid0(VALU_DEP_1)
	s_and_b32 vcc_lo, exec_lo, s2
	s_cbranch_vccnz .LBB0_8
; %bb.1:
	s_load_b64 s[2:3], s[0:1], 0x10
	v_mov_b32_e32 v1, 0
	v_mov_b32_e32 v2, 0
	s_add_u32 s12, s18, 8
	s_addc_u32 s13, s19, 0
	s_add_u32 s14, s16, 8
	s_addc_u32 s15, s17, 0
	v_dual_mov_b32 v197, v2 :: v_dual_mov_b32 v196, v1
	s_mov_b64 s[22:23], 1
	s_waitcnt lgkmcnt(0)
	s_add_u32 s20, s2, 8
	s_addc_u32 s21, s3, 0
.LBB0_2:                                ; =>This Inner Loop Header: Depth=1
	s_load_b64 s[24:25], s[20:21], 0x0
                                        ; implicit-def: $vgpr192_vgpr193
	s_mov_b32 s2, exec_lo
	s_waitcnt lgkmcnt(0)
	v_or_b32_e32 v4, s25, v6
	s_delay_alu instid0(VALU_DEP_1)
	v_cmpx_ne_u64_e32 0, v[3:4]
	s_xor_b32 s3, exec_lo, s2
	s_cbranch_execz .LBB0_4
; %bb.3:                                ;   in Loop: Header=BB0_2 Depth=1
	v_cvt_f32_u32_e32 v4, s24
	v_cvt_f32_u32_e32 v7, s25
	s_sub_u32 s2, 0, s24
	s_subb_u32 s26, 0, s25
	s_delay_alu instid0(VALU_DEP_1) | instskip(NEXT) | instid1(VALU_DEP_1)
	v_fmac_f32_e32 v4, 0x4f800000, v7
	v_rcp_f32_e32 v4, v4
	s_waitcnt_depctr 0xfff
	v_mul_f32_e32 v4, 0x5f7ffffc, v4
	s_delay_alu instid0(VALU_DEP_1) | instskip(NEXT) | instid1(VALU_DEP_1)
	v_mul_f32_e32 v7, 0x2f800000, v4
	v_trunc_f32_e32 v7, v7
	s_delay_alu instid0(VALU_DEP_1) | instskip(SKIP_1) | instid1(VALU_DEP_2)
	v_fmac_f32_e32 v4, 0xcf800000, v7
	v_cvt_u32_f32_e32 v7, v7
	v_cvt_u32_f32_e32 v4, v4
	s_delay_alu instid0(VALU_DEP_2) | instskip(NEXT) | instid1(VALU_DEP_2)
	v_mul_lo_u32 v8, s2, v7
	v_mul_hi_u32 v9, s2, v4
	v_mul_lo_u32 v10, s26, v4
	s_delay_alu instid0(VALU_DEP_2) | instskip(SKIP_1) | instid1(VALU_DEP_2)
	v_add_nc_u32_e32 v8, v9, v8
	v_mul_lo_u32 v9, s2, v4
	v_add_nc_u32_e32 v8, v8, v10
	s_delay_alu instid0(VALU_DEP_2) | instskip(NEXT) | instid1(VALU_DEP_2)
	v_mul_hi_u32 v10, v4, v9
	v_mul_lo_u32 v11, v4, v8
	v_mul_hi_u32 v12, v4, v8
	v_mul_hi_u32 v13, v7, v9
	v_mul_lo_u32 v9, v7, v9
	v_mul_hi_u32 v14, v7, v8
	v_mul_lo_u32 v8, v7, v8
	v_add_co_u32 v10, vcc_lo, v10, v11
	v_add_co_ci_u32_e32 v11, vcc_lo, 0, v12, vcc_lo
	s_delay_alu instid0(VALU_DEP_2) | instskip(NEXT) | instid1(VALU_DEP_2)
	v_add_co_u32 v9, vcc_lo, v10, v9
	v_add_co_ci_u32_e32 v9, vcc_lo, v11, v13, vcc_lo
	v_add_co_ci_u32_e32 v10, vcc_lo, 0, v14, vcc_lo
	s_delay_alu instid0(VALU_DEP_2) | instskip(NEXT) | instid1(VALU_DEP_2)
	v_add_co_u32 v8, vcc_lo, v9, v8
	v_add_co_ci_u32_e32 v9, vcc_lo, 0, v10, vcc_lo
	s_delay_alu instid0(VALU_DEP_2) | instskip(NEXT) | instid1(VALU_DEP_2)
	v_add_co_u32 v4, vcc_lo, v4, v8
	v_add_co_ci_u32_e32 v7, vcc_lo, v7, v9, vcc_lo
	s_delay_alu instid0(VALU_DEP_2) | instskip(SKIP_1) | instid1(VALU_DEP_3)
	v_mul_hi_u32 v8, s2, v4
	v_mul_lo_u32 v10, s26, v4
	v_mul_lo_u32 v9, s2, v7
	s_delay_alu instid0(VALU_DEP_1) | instskip(SKIP_1) | instid1(VALU_DEP_2)
	v_add_nc_u32_e32 v8, v8, v9
	v_mul_lo_u32 v9, s2, v4
	v_add_nc_u32_e32 v8, v8, v10
	s_delay_alu instid0(VALU_DEP_2) | instskip(NEXT) | instid1(VALU_DEP_2)
	v_mul_hi_u32 v10, v4, v9
	v_mul_lo_u32 v11, v4, v8
	v_mul_hi_u32 v12, v4, v8
	v_mul_hi_u32 v13, v7, v9
	v_mul_lo_u32 v9, v7, v9
	v_mul_hi_u32 v14, v7, v8
	v_mul_lo_u32 v8, v7, v8
	v_add_co_u32 v10, vcc_lo, v10, v11
	v_add_co_ci_u32_e32 v11, vcc_lo, 0, v12, vcc_lo
	s_delay_alu instid0(VALU_DEP_2) | instskip(NEXT) | instid1(VALU_DEP_2)
	v_add_co_u32 v9, vcc_lo, v10, v9
	v_add_co_ci_u32_e32 v9, vcc_lo, v11, v13, vcc_lo
	v_add_co_ci_u32_e32 v10, vcc_lo, 0, v14, vcc_lo
	s_delay_alu instid0(VALU_DEP_2) | instskip(NEXT) | instid1(VALU_DEP_2)
	v_add_co_u32 v8, vcc_lo, v9, v8
	v_add_co_ci_u32_e32 v9, vcc_lo, 0, v10, vcc_lo
	s_delay_alu instid0(VALU_DEP_2) | instskip(NEXT) | instid1(VALU_DEP_2)
	v_add_co_u32 v4, vcc_lo, v4, v8
	v_add_co_ci_u32_e32 v13, vcc_lo, v7, v9, vcc_lo
	s_delay_alu instid0(VALU_DEP_2) | instskip(SKIP_1) | instid1(VALU_DEP_3)
	v_mul_hi_u32 v14, v5, v4
	v_mad_u64_u32 v[9:10], null, v6, v4, 0
	v_mad_u64_u32 v[7:8], null, v5, v13, 0
	;; [unrolled: 1-line block ×3, first 2 shown]
	s_delay_alu instid0(VALU_DEP_2) | instskip(NEXT) | instid1(VALU_DEP_3)
	v_add_co_u32 v4, vcc_lo, v14, v7
	v_add_co_ci_u32_e32 v7, vcc_lo, 0, v8, vcc_lo
	s_delay_alu instid0(VALU_DEP_2) | instskip(NEXT) | instid1(VALU_DEP_2)
	v_add_co_u32 v4, vcc_lo, v4, v9
	v_add_co_ci_u32_e32 v4, vcc_lo, v7, v10, vcc_lo
	v_add_co_ci_u32_e32 v7, vcc_lo, 0, v12, vcc_lo
	s_delay_alu instid0(VALU_DEP_2) | instskip(NEXT) | instid1(VALU_DEP_2)
	v_add_co_u32 v4, vcc_lo, v4, v11
	v_add_co_ci_u32_e32 v9, vcc_lo, 0, v7, vcc_lo
	s_delay_alu instid0(VALU_DEP_2) | instskip(SKIP_1) | instid1(VALU_DEP_3)
	v_mul_lo_u32 v10, s25, v4
	v_mad_u64_u32 v[7:8], null, s24, v4, 0
	v_mul_lo_u32 v11, s24, v9
	s_delay_alu instid0(VALU_DEP_2) | instskip(NEXT) | instid1(VALU_DEP_2)
	v_sub_co_u32 v7, vcc_lo, v5, v7
	v_add3_u32 v8, v8, v11, v10
	s_delay_alu instid0(VALU_DEP_1) | instskip(NEXT) | instid1(VALU_DEP_1)
	v_sub_nc_u32_e32 v10, v6, v8
	v_subrev_co_ci_u32_e64 v10, s2, s25, v10, vcc_lo
	v_add_co_u32 v11, s2, v4, 2
	s_delay_alu instid0(VALU_DEP_1) | instskip(SKIP_3) | instid1(VALU_DEP_3)
	v_add_co_ci_u32_e64 v12, s2, 0, v9, s2
	v_sub_co_u32 v13, s2, v7, s24
	v_sub_co_ci_u32_e32 v8, vcc_lo, v6, v8, vcc_lo
	v_subrev_co_ci_u32_e64 v10, s2, 0, v10, s2
	v_cmp_le_u32_e32 vcc_lo, s24, v13
	s_delay_alu instid0(VALU_DEP_3) | instskip(SKIP_1) | instid1(VALU_DEP_4)
	v_cmp_eq_u32_e64 s2, s25, v8
	v_cndmask_b32_e64 v13, 0, -1, vcc_lo
	v_cmp_le_u32_e32 vcc_lo, s25, v10
	v_cndmask_b32_e64 v14, 0, -1, vcc_lo
	v_cmp_le_u32_e32 vcc_lo, s24, v7
	;; [unrolled: 2-line block ×3, first 2 shown]
	v_cndmask_b32_e64 v15, 0, -1, vcc_lo
	v_cmp_eq_u32_e32 vcc_lo, s25, v10
	s_delay_alu instid0(VALU_DEP_2) | instskip(SKIP_3) | instid1(VALU_DEP_3)
	v_cndmask_b32_e64 v7, v15, v7, s2
	v_cndmask_b32_e32 v10, v14, v13, vcc_lo
	v_add_co_u32 v13, vcc_lo, v4, 1
	v_add_co_ci_u32_e32 v14, vcc_lo, 0, v9, vcc_lo
	v_cmp_ne_u32_e32 vcc_lo, 0, v10
	s_delay_alu instid0(VALU_DEP_2) | instskip(NEXT) | instid1(VALU_DEP_4)
	v_cndmask_b32_e32 v8, v14, v12, vcc_lo
	v_cndmask_b32_e32 v10, v13, v11, vcc_lo
	v_cmp_ne_u32_e32 vcc_lo, 0, v7
	s_delay_alu instid0(VALU_DEP_2)
	v_dual_cndmask_b32 v193, v9, v8 :: v_dual_cndmask_b32 v192, v4, v10
.LBB0_4:                                ;   in Loop: Header=BB0_2 Depth=1
	s_and_not1_saveexec_b32 s2, s3
	s_cbranch_execz .LBB0_6
; %bb.5:                                ;   in Loop: Header=BB0_2 Depth=1
	v_cvt_f32_u32_e32 v4, s24
	s_sub_i32 s3, 0, s24
	v_mov_b32_e32 v193, v3
	s_delay_alu instid0(VALU_DEP_2) | instskip(SKIP_2) | instid1(VALU_DEP_1)
	v_rcp_iflag_f32_e32 v4, v4
	s_waitcnt_depctr 0xfff
	v_mul_f32_e32 v4, 0x4f7ffffe, v4
	v_cvt_u32_f32_e32 v4, v4
	s_delay_alu instid0(VALU_DEP_1) | instskip(NEXT) | instid1(VALU_DEP_1)
	v_mul_lo_u32 v7, s3, v4
	v_mul_hi_u32 v7, v4, v7
	s_delay_alu instid0(VALU_DEP_1) | instskip(NEXT) | instid1(VALU_DEP_1)
	v_add_nc_u32_e32 v4, v4, v7
	v_mul_hi_u32 v4, v5, v4
	s_delay_alu instid0(VALU_DEP_1) | instskip(SKIP_1) | instid1(VALU_DEP_2)
	v_mul_lo_u32 v7, v4, s24
	v_add_nc_u32_e32 v8, 1, v4
	v_sub_nc_u32_e32 v7, v5, v7
	s_delay_alu instid0(VALU_DEP_1) | instskip(SKIP_1) | instid1(VALU_DEP_2)
	v_subrev_nc_u32_e32 v9, s24, v7
	v_cmp_le_u32_e32 vcc_lo, s24, v7
	v_dual_cndmask_b32 v7, v7, v9 :: v_dual_cndmask_b32 v4, v4, v8
	s_delay_alu instid0(VALU_DEP_1) | instskip(NEXT) | instid1(VALU_DEP_2)
	v_cmp_le_u32_e32 vcc_lo, s24, v7
	v_add_nc_u32_e32 v8, 1, v4
	s_delay_alu instid0(VALU_DEP_1)
	v_cndmask_b32_e32 v192, v4, v8, vcc_lo
.LBB0_6:                                ;   in Loop: Header=BB0_2 Depth=1
	s_or_b32 exec_lo, exec_lo, s2
	s_delay_alu instid0(VALU_DEP_1) | instskip(NEXT) | instid1(VALU_DEP_2)
	v_mul_lo_u32 v4, v193, s24
	v_mul_lo_u32 v9, v192, s25
	s_load_b64 s[2:3], s[14:15], 0x0
	v_mad_u64_u32 v[7:8], null, v192, s24, 0
	s_load_b64 s[24:25], s[12:13], 0x0
	s_add_u32 s22, s22, 1
	s_addc_u32 s23, s23, 0
	s_add_u32 s12, s12, 8
	s_addc_u32 s13, s13, 0
	s_add_u32 s14, s14, 8
	s_delay_alu instid0(VALU_DEP_1) | instskip(SKIP_3) | instid1(VALU_DEP_2)
	v_add3_u32 v4, v8, v9, v4
	v_sub_co_u32 v8, vcc_lo, v5, v7
	s_addc_u32 s15, s15, 0
	s_add_u32 s20, s20, 8
	v_sub_co_ci_u32_e32 v6, vcc_lo, v6, v4, vcc_lo
	s_addc_u32 s21, s21, 0
	s_waitcnt lgkmcnt(0)
	s_delay_alu instid0(VALU_DEP_1)
	v_mul_lo_u32 v9, s2, v6
	v_mul_lo_u32 v10, s3, v8
	v_mad_u64_u32 v[4:5], null, s2, v8, v[1:2]
	v_mul_lo_u32 v11, s24, v6
	v_mul_lo_u32 v12, s25, v8
	v_mad_u64_u32 v[6:7], null, s24, v8, v[196:197]
	v_cmp_ge_u64_e64 s2, s[22:23], s[10:11]
	v_add3_u32 v2, v10, v5, v9
	s_delay_alu instid0(VALU_DEP_3) | instskip(NEXT) | instid1(VALU_DEP_4)
	v_dual_mov_b32 v1, v4 :: v_dual_mov_b32 v196, v6
	v_add3_u32 v197, v12, v7, v11
	s_delay_alu instid0(VALU_DEP_4)
	s_and_b32 vcc_lo, exec_lo, s2
	s_cbranch_vccnz .LBB0_9
; %bb.7:                                ;   in Loop: Header=BB0_2 Depth=1
	v_dual_mov_b32 v5, v192 :: v_dual_mov_b32 v6, v193
	s_branch .LBB0_2
.LBB0_8:
	v_dual_mov_b32 v197, v2 :: v_dual_mov_b32 v196, v1
	v_dual_mov_b32 v193, v6 :: v_dual_mov_b32 v192, v5
.LBB0_9:
	s_load_b64 s[0:1], s[0:1], 0x28
	v_mul_hi_u32 v3, 0x2d82d83, v0
	s_lshl_b64 s[2:3], s[10:11], 3
                                        ; implicit-def: $vgpr212
	s_delay_alu instid0(SALU_CYCLE_1) | instskip(SKIP_4) | instid1(VALU_DEP_1)
	s_add_u32 s10, s18, s2
	s_addc_u32 s11, s19, s3
	s_waitcnt lgkmcnt(0)
	v_cmp_gt_u64_e32 vcc_lo, s[0:1], v[192:193]
	v_cmp_le_u64_e64 s0, s[0:1], v[192:193]
	s_and_saveexec_b32 s1, s0
	s_delay_alu instid0(SALU_CYCLE_1)
	s_xor_b32 s0, exec_lo, s1
; %bb.10:
	v_mul_u32_u24_e32 v1, 0x5a, v3
                                        ; implicit-def: $vgpr3
	s_delay_alu instid0(VALU_DEP_1)
	v_sub_nc_u32_e32 v212, v0, v1
                                        ; implicit-def: $vgpr0
                                        ; implicit-def: $vgpr1_vgpr2
; %bb.11:
	s_or_saveexec_b32 s1, s0
                                        ; implicit-def: $vgpr72_vgpr73
                                        ; implicit-def: $vgpr96_vgpr97
                                        ; implicit-def: $vgpr92_vgpr93
                                        ; implicit-def: $vgpr76_vgpr77
                                        ; implicit-def: $vgpr104_vgpr105
                                        ; implicit-def: $vgpr88_vgpr89
                                        ; implicit-def: $vgpr80_vgpr81
                                        ; implicit-def: $vgpr60_vgpr61
                                        ; implicit-def: $vgpr100_vgpr101
                                        ; implicit-def: $vgpr84_vgpr85
                                        ; implicit-def: $vgpr52_vgpr53
                                        ; implicit-def: $vgpr56_vgpr57
                                        ; implicit-def: $vgpr12_vgpr13
                                        ; implicit-def: $vgpr48_vgpr49
                                        ; implicit-def: $vgpr28_vgpr29
                                        ; implicit-def: $vgpr16_vgpr17
                                        ; implicit-def: $vgpr36_vgpr37
                                        ; implicit-def: $vgpr32_vgpr33
                                        ; implicit-def: $vgpr20_vgpr21
                                        ; implicit-def: $vgpr44_vgpr45
                                        ; implicit-def: $vgpr40_vgpr41
                                        ; implicit-def: $vgpr64_vgpr65
                                        ; implicit-def: $vgpr112_vgpr113
                                        ; implicit-def: $vgpr116_vgpr117
                                        ; implicit-def: $vgpr68_vgpr69
                                        ; implicit-def: $vgpr120_vgpr121
                                        ; implicit-def: $vgpr8_vgpr9
                                        ; implicit-def: $vgpr24_vgpr25
                                        ; implicit-def: $vgpr108_vgpr109
                                        ; implicit-def: $vgpr4_vgpr5
	s_delay_alu instid0(SALU_CYCLE_1)
	s_xor_b32 exec_lo, exec_lo, s1
	s_cbranch_execz .LBB0_13
; %bb.12:
	s_add_u32 s2, s16, s2
	s_addc_u32 s3, s17, s3
	v_lshlrev_b64 v[1:2], 4, v[1:2]
	s_load_b64 s[2:3], s[2:3], 0x0
	s_waitcnt lgkmcnt(0)
	v_mul_lo_u32 v6, s3, v192
	v_mul_lo_u32 v7, s2, v193
	v_mad_u64_u32 v[4:5], null, s2, v192, 0
	s_delay_alu instid0(VALU_DEP_1) | instskip(SKIP_1) | instid1(VALU_DEP_2)
	v_add3_u32 v5, v5, v7, v6
	v_mul_u32_u24_e32 v6, 0x5a, v3
	v_lshlrev_b64 v[3:4], 4, v[4:5]
	s_delay_alu instid0(VALU_DEP_2) | instskip(NEXT) | instid1(VALU_DEP_2)
	v_sub_nc_u32_e32 v212, v0, v6
	v_add_co_u32 v0, s0, s4, v3
	s_delay_alu instid0(VALU_DEP_1) | instskip(NEXT) | instid1(VALU_DEP_3)
	v_add_co_ci_u32_e64 v3, s0, s5, v4, s0
	v_lshlrev_b32_e32 v4, 4, v212
	s_delay_alu instid0(VALU_DEP_3) | instskip(NEXT) | instid1(VALU_DEP_1)
	v_add_co_u32 v0, s0, v0, v1
	v_add_co_ci_u32_e64 v1, s0, v3, v2, s0
	s_delay_alu instid0(VALU_DEP_2) | instskip(NEXT) | instid1(VALU_DEP_1)
	v_add_co_u32 v0, s0, v0, v4
	v_add_co_ci_u32_e64 v1, s0, 0, v1, s0
	s_clause 0x1
	global_load_b128 v[2:5], v[0:1], off
	global_load_b128 v[6:9], v[0:1], off offset:1440
	v_add_co_u32 v70, s0, 0x3000, v0
	s_delay_alu instid0(VALU_DEP_1) | instskip(SKIP_1) | instid1(VALU_DEP_1)
	v_add_co_ci_u32_e64 v71, s0, 0, v1, s0
	v_add_co_u32 v10, s0, 0x7000, v0
	v_add_co_ci_u32_e64 v11, s0, 0, v1, s0
	v_add_co_u32 v12, s0, 0x4000, v0
	s_delay_alu instid0(VALU_DEP_1) | instskip(SKIP_1) | instid1(VALU_DEP_1)
	v_add_co_ci_u32_e64 v13, s0, 0, v1, s0
	v_add_co_u32 v14, s0, 0x1000, v0
	v_add_co_ci_u32_e64 v15, s0, 0, v1, s0
	;; [unrolled: 5-line block ×4, first 2 shown]
	v_add_co_u32 v94, s0, 0x6000, v0
	s_delay_alu instid0(VALU_DEP_1)
	v_add_co_ci_u32_e64 v95, s0, 0, v1, s0
	v_add_co_u32 v122, s0, 0xa000, v0
	s_clause 0xf
	global_load_b128 v[22:25], v[10:11], off offset:128
	global_load_b128 v[66:69], v[10:11], off offset:1568
	;; [unrolled: 1-line block ×16, first 2 shown]
	v_add_co_ci_u32_e64 v123, s0, 0, v1, s0
	s_clause 0xb
	global_load_b128 v[98:101], v[72:73], off offset:1888
	global_load_b128 v[86:89], v[72:73], off offset:3328
	;; [unrolled: 1-line block ×12, first 2 shown]
.LBB0_13:
	s_or_b32 exec_lo, exec_lo, s1
	s_waitcnt vmcnt(6)
	v_add_f64 v[0:1], v[66:67], v[118:119]
	v_add_f64 v[122:123], v[62:63], v[110:111]
	;; [unrolled: 1-line block ×8, first 2 shown]
	s_waitcnt vmcnt(2)
	v_add_f64 v[136:137], v[74:75], v[102:103]
	s_waitcnt vmcnt(0)
	v_add_f64 v[138:139], v[70:71], v[94:95]
	v_add_f64 v[140:141], v[118:119], v[6:7]
	v_add_f64 v[142:143], v[120:121], -v[68:69]
	v_add_f64 v[148:149], v[42:43], v[38:39]
	v_add_f64 v[160:161], v[46:47], v[26:27]
	;; [unrolled: 1-line block ×3, first 2 shown]
	v_add_f64 v[146:147], v[112:113], -v[64:65]
	v_add_f64 v[152:153], v[34:35], v[30:31]
	v_add_f64 v[162:163], v[50:51], v[54:55]
	v_add_f64 v[150:151], v[44:45], -v[20:21]
	v_add_f64 v[156:157], v[106:107], v[2:3]
	v_add_f64 v[164:165], v[58:59], v[98:99]
	v_add_f64 v[154:155], v[36:37], -v[16:17]
	v_add_f64 v[158:159], v[108:109], -v[24:25]
	s_mov_b32 s2, 0xe8584caa
	s_mov_b32 s3, 0x3febb67a
	v_add_f64 v[166:167], v[118:119], -v[66:67]
	v_add_f64 v[110:111], v[110:111], -v[62:63]
	s_mov_b32 s5, 0xbfebb67a
	s_mov_b32 s4, s2
	s_load_b64 s[10:11], s[10:11], 0x0
	v_add_f64 v[118:119], v[112:113], v[116:117]
	v_add_f64 v[112:113], v[64:65], v[112:113]
	v_and_b32_e32 v198, 0xff, v212
	v_lshl_add_u32 v213, v212, 3, 0
	s_mov_b32 s20, 0x134454ff
	s_mov_b32 s21, 0x3fee6f0e
	;; [unrolled: 1-line block ×4, first 2 shown]
	v_fma_f64 v[0:1], v[0:1], -0.5, v[6:7]
	v_fma_f64 v[6:7], v[122:123], -0.5, v[114:115]
	;; [unrolled: 1-line block ×5, first 2 shown]
	v_add_f64 v[122:123], v[48:49], -v[12:13]
	v_fma_f64 v[124:125], v[130:131], -0.5, v[26:27]
	v_add_f64 v[126:127], v[52:53], -v[84:85]
	v_fma_f64 v[54:55], v[132:133], -0.5, v[54:55]
	;; [unrolled: 2-line block ×3, first 2 shown]
	v_add_f64 v[130:131], v[104:105], -v[76:77]
	v_add_f64 v[132:133], v[102:103], v[86:87]
	v_add_f64 v[134:135], v[94:95], v[90:91]
	v_fma_f64 v[86:87], v[136:137], -0.5, v[86:87]
	v_add_f64 v[136:137], v[96:97], -v[72:73]
	v_fma_f64 v[90:91], v[138:139], -0.5, v[90:91]
	v_add_f64 v[66:67], v[66:67], v[140:141]
	v_add_f64 v[138:139], v[18:19], v[148:149]
	;; [unrolled: 1-line block ×8, first 2 shown]
	v_mad_u32_u24 v26, v212, 24, 0
	v_add_f64 v[114:115], v[120:121], v[8:9]
	v_add_f64 v[120:121], v[68:69], v[120:121]
	v_add_f64 v[22:23], v[106:107], -v[22:23]
	v_add_f64 v[18:19], v[42:43], -v[18:19]
	v_add_nc_u32_e32 v172, 0x1950, v26
	v_add_nc_u32_e32 v173, 0x21c0, v26
	;; [unrolled: 1-line block ×7, first 2 shown]
	v_add_f64 v[14:15], v[34:35], -v[14:15]
	v_fma_f64 v[160:161], v[142:143], s[2:3], v[0:1]
	v_fma_f64 v[162:163], v[146:147], s[2:3], v[6:7]
	;; [unrolled: 1-line block ×16, first 2 shown]
	v_add_f64 v[128:129], v[74:75], v[132:133]
	v_add_f64 v[132:133], v[70:71], v[134:135]
	v_fma_f64 v[134:135], v[130:131], s[2:3], v[86:87]
	v_fma_f64 v[86:87], v[130:131], s[4:5], v[86:87]
	;; [unrolled: 1-line block ×4, first 2 shown]
	v_add_f64 v[136:137], v[24:25], v[108:109]
	v_add_nc_u32_e32 v158, 0x870, v26
	v_add_nc_u32_e32 v159, 0x10e0, v26
	v_add_f64 v[150:151], v[16:17], v[36:37]
	v_add_f64 v[146:147], v[20:21], v[44:45]
	;; [unrolled: 1-line block ×3, first 2 shown]
	v_add_f64 v[42:43], v[46:47], -v[10:11]
	v_add_f64 v[46:47], v[52:53], v[56:57]
	v_add_f64 v[70:71], v[94:95], -v[70:71]
	v_fma_f64 v[8:9], v[120:121], -0.5, v[8:9]
	v_add_f64 v[36:37], v[36:37], v[32:33]
	v_fma_f64 v[154:155], v[112:113], -0.5, v[116:117]
	v_add_f64 v[44:45], v[44:45], v[40:41]
	v_add_f64 v[68:69], v[68:69], v[114:115]
	;; [unrolled: 1-line block ×3, first 2 shown]
	v_add_nc_u32_e32 v214, 0x400, v213
	ds_store_2addr_b64 v158, v[66:67], v[160:161] offset1:1
	ds_store_2addr_b64 v159, v[62:63], v[162:163] offset1:1
	;; [unrolled: 1-line block ×5, first 2 shown]
	ds_store_b64 v26, v[2:3] offset:16
	ds_store_b64 v26, v[0:1] offset:2176
	ds_store_b64 v26, v[6:7] offset:4336
	ds_store_b64 v26, v[38:39] offset:6496
	ds_store_b64 v26, v[30:31] offset:8656
	ds_store_b64 v26, v[148:149] offset:10800
	ds_store_2addr_b64 v174, v[142:143], v[122:123] offset1:1
	ds_store_b64 v26, v[152:153] offset:12960
	ds_store_2addr_b64 v175, v[124:125], v[54:55] offset1:1
	ds_store_b64 v26, v[156:157] offset:15120
	ds_store_2addr_b64 v176, v[126:127], v[98:99] offset1:1
	v_add_f64 v[6:7], v[12:13], v[48:49]
	v_add_f64 v[30:31], v[84:85], v[52:53]
	;; [unrolled: 1-line block ×6, first 2 shown]
	v_add_f64 v[48:49], v[50:51], -v[82:83]
	v_add_f64 v[50:51], v[60:61], v[100:101]
	v_add_f64 v[52:53], v[58:59], -v[78:79]
	v_add_f64 v[58:59], v[102:103], -v[74:75]
	v_add_f64 v[60:61], v[96:97], v[92:93]
	v_add_nc_u32_e32 v217, 0x1000, v213
	v_add_nc_u32_e32 v225, 0x4800, v213
	;; [unrolled: 1-line block ×4, first 2 shown]
	ds_store_b64 v26, v[128:129] offset:17280
	ds_store_2addr_b64 v177, v[134:135], v[86:87] offset1:1
	ds_store_b64 v26, v[132:133] offset:19440
	ds_store_2addr_b64 v178, v[130:131], v[90:91] offset1:1
	v_add_nc_u32_e32 v224, 0x3c00, v213
	v_add_nc_u32_e32 v227, 0x4c00, v213
	v_fma_f64 v[86:87], v[136:137], -0.5, v[4:5]
	v_add_nc_u32_e32 v219, 0x1400, v213
	v_add_nc_u32_e32 v223, 0x800, v213
	v_fma_f64 v[32:33], v[150:151], -0.5, v[32:33]
	v_fma_f64 v[40:41], v[146:147], -0.5, v[40:41]
	v_add_nc_u32_e32 v229, 0x2000, v213
	v_add_nc_u32_e32 v218, 0x2400, v213
	;; [unrolled: 1-line block ×3, first 2 shown]
	s_waitcnt lgkmcnt(0)
	v_fma_f64 v[74:75], v[166:167], s[4:5], v[8:9]
	v_fma_f64 v[94:95], v[166:167], s[2:3], v[8:9]
	;; [unrolled: 1-line block ×4, first 2 shown]
	v_add_f64 v[44:45], v[20:21], v[44:45]
	v_add_f64 v[36:37], v[16:17], v[36:37]
	s_barrier
	buffer_gl0_inv
	v_fma_f64 v[27:28], v[6:7], -0.5, v[28:29]
	v_fma_f64 v[29:30], v[30:31], -0.5, v[56:57]
	;; [unrolled: 1-line block ×3, first 2 shown]
	v_add_f64 v[56:57], v[104:105], v[88:89]
	v_fma_f64 v[54:55], v[54:55], -0.5, v[88:89]
	v_fma_f64 v[62:63], v[62:63], -0.5, v[92:93]
	v_add_f64 v[24:25], v[24:25], v[66:67]
	ds_load_2addr_b64 v[0:3], v213 offset1:90
	v_add_nc_u32_e32 v228, 0x3800, v213
	v_add_nc_u32_e32 v220, 0x4000, v213
	ds_load_2addr_b64 v[4:7], v214 offset0:52 offset1:142
	ds_load_2addr_b64 v[90:93], v217 offset0:28 offset1:118
	;; [unrolled: 1-line block ×11, first 2 shown]
	s_mov_b32 s16, 0x4755a5e
	s_mov_b32 s17, 0x3fe2cf23
	;; [unrolled: 1-line block ×7, first 2 shown]
	v_fma_f64 v[66:67], v[22:23], s[4:5], v[86:87]
	v_fma_f64 v[82:83], v[22:23], s[2:3], v[86:87]
	ds_load_2addr_b64 v[20:23], v227 offset0:88 offset1:178
	v_fma_f64 v[88:89], v[14:15], s[4:5], v[32:33]
	v_fma_f64 v[31:32], v[14:15], s[2:3], v[32:33]
	v_add_f64 v[33:34], v[12:13], v[34:35]
	v_fma_f64 v[86:87], v[18:19], s[4:5], v[40:41]
	v_fma_f64 v[40:41], v[18:19], s[2:3], v[40:41]
	v_mul_lo_u16 v35, 0xab, v198
	ds_load_2addr_b64 v[12:15], v226 offset0:160 offset1:250
	ds_load_2addr_b64 v[16:19], v224 offset0:60 offset1:150
	s_waitcnt lgkmcnt(0)
	s_barrier
	v_lshrrev_b16 v205, 9, v35
	buffer_gl0_inv
	s_mov_b32 s19, 0x3fe9e377
	ds_store_2addr_b64 v26, v[24:25], v[66:67] offset1:1
	ds_store_b64 v26, v[82:83] offset:16
	v_fma_f64 v[102:103], v[42:43], s[4:5], v[27:28]
	v_fma_f64 v[27:28], v[42:43], s[2:3], v[27:28]
	v_add_f64 v[42:43], v[84:85], v[46:47]
	v_fma_f64 v[46:47], v[48:49], s[4:5], v[29:30]
	v_fma_f64 v[29:30], v[48:49], s[2:3], v[29:30]
	v_add_f64 v[48:49], v[80:81], v[50:51]
	;; [unrolled: 3-line block ×4, first 2 shown]
	v_fma_f64 v[60:61], v[70:71], s[4:5], v[62:63]
	v_fma_f64 v[62:63], v[70:71], s[2:3], v[62:63]
	v_add_nc_u32_e32 v70, 0x5a, v212
	v_mul_lo_u16 v25, v205, 3
	ds_store_2addr_b64 v158, v[68:69], v[74:75] offset1:1
	ds_store_2addr_b64 v159, v[64:65], v[78:79] offset1:1
	;; [unrolled: 1-line block ×4, first 2 shown]
	ds_store_b64 v26, v[94:95] offset:2176
	ds_store_b64 v26, v[96:97] offset:4336
	;; [unrolled: 1-line block ×5, first 2 shown]
	ds_store_2addr_b64 v174, v[102:103], v[27:28] offset1:1
	ds_store_b64 v26, v[42:43] offset:12960
	ds_store_2addr_b64 v175, v[46:47], v[29:30] offset1:1
	v_and_b32_e32 v199, 0xff, v70
	ds_store_b64 v26, v[48:49] offset:15120
	ds_store_2addr_b64 v176, v[50:51], v[38:39] offset1:1
	ds_store_b64 v26, v[52:53] offset:17280
	v_mul_lo_u16 v24, 0xab, v199
	ds_store_2addr_b64 v177, v[56:57], v[54:55] offset1:1
	ds_store_b64 v26, v[58:59] offset:19440
	ds_store_2addr_b64 v178, v[60:61], v[62:63] offset1:1
	v_lshrrev_b16 v201, 9, v24
	v_sub_nc_u16 v24, v212, v25
	s_waitcnt lgkmcnt(0)
	s_barrier
	buffer_gl0_inv
	v_mul_lo_u16 v25, v201, 3
	v_and_b32_e32 v206, 0xff, v24
	s_delay_alu instid0(VALU_DEP_2) | instskip(NEXT) | instid1(VALU_DEP_2)
	v_sub_nc_u16 v25, v70, v25
	v_mul_u32_u24_e32 v24, 9, v206
	s_delay_alu instid0(VALU_DEP_2) | instskip(NEXT) | instid1(VALU_DEP_2)
	v_and_b32_e32 v202, 0xff, v25
	v_lshlrev_b32_e32 v76, 4, v24
	s_delay_alu instid0(VALU_DEP_2)
	v_mul_u32_u24_e32 v25, 9, v202
	global_load_b128 v[84:87], v76, s[8:9] offset:16
	v_lshlrev_b32_e32 v211, 3, v202
	v_lshlrev_b32_e32 v40, 4, v25
	v_add_nc_u32_e32 v25, 0xb4, v212
	s_clause 0x4
	global_load_b128 v[94:97], v40, s[8:9] offset:16
	global_load_b128 v[108:111], v76, s[8:9] offset:48
	;; [unrolled: 1-line block ×5, first 2 shown]
	v_and_b32_e32 v200, 0xffff, v25
	s_clause 0x1
	global_load_b128 v[168:171], v76, s[8:9] offset:112
	global_load_b128 v[172:175], v40, s[8:9] offset:112
	v_mul_u32_u24_e32 v24, 0xaaab, v200
	s_delay_alu instid0(VALU_DEP_1) | instskip(NEXT) | instid1(VALU_DEP_1)
	v_lshrrev_b32_e32 v203, 17, v24
	v_mul_lo_u16 v24, v203, 3
	s_delay_alu instid0(VALU_DEP_1) | instskip(NEXT) | instid1(VALU_DEP_1)
	v_sub_nc_u16 v24, v25, v24
	v_and_b32_e32 v204, 0xffff, v24
	s_delay_alu instid0(VALU_DEP_1) | instskip(NEXT) | instid1(VALU_DEP_1)
	v_mul_u32_u24_e32 v24, 9, v204
	v_lshlrev_b32_e32 v72, 4, v24
	s_clause 0x12
	global_load_b128 v[176:179], v40, s[8:9]
	global_load_b128 v[180:183], v72, s[8:9]
	global_load_b128 v[184:187], v76, s[8:9] offset:32
	global_load_b128 v[24:27], v72, s[8:9] offset:16
	;; [unrolled: 1-line block ×16, first 2 shown]
	global_load_b128 v[76:79], v76, s[8:9]
	ds_load_2addr_b64 v[150:153], v217 offset0:28 offset1:118
	ds_load_2addr_b64 v[188:191], v229 offset0:56 offset1:146
	;; [unrolled: 1-line block ×6, first 2 shown]
	s_waitcnt vmcnt(26) lgkmcnt(5)
	v_mul_f64 v[88:89], v[150:151], v[86:87]
	v_mul_f64 v[86:87], v[90:91], v[86:87]
	s_waitcnt vmcnt(25)
	v_mul_f64 v[102:103], v[152:153], v[96:97]
	v_mul_f64 v[96:97], v[92:93], v[96:97]
	s_waitcnt vmcnt(24) lgkmcnt(4)
	v_mul_f64 v[154:155], v[188:189], v[110:111]
	v_mul_f64 v[110:111], v[98:99], v[110:111]
	s_waitcnt vmcnt(23)
	v_mul_f64 v[160:161], v[190:191], v[138:139]
	v_mul_f64 v[138:139], v[100:101], v[138:139]
	;; [unrolled: 6-line block ×3, first 2 shown]
	s_waitcnt vmcnt(20) lgkmcnt(2)
	v_mul_f64 v[246:247], v[238:239], v[170:171]
	s_waitcnt vmcnt(19)
	v_mul_f64 v[248:249], v[240:241], v[174:175]
	v_mul_f64 v[170:171], v[112:113], v[170:171]
	;; [unrolled: 1-line block ×3, first 2 shown]
	s_waitcnt vmcnt(18) lgkmcnt(1)
	v_mul_f64 v[250:251], v[242:243], v[178:179]
	v_mul_f64 v[178:179], v[132:133], v[178:179]
	s_waitcnt vmcnt(17)
	v_mul_f64 v[252:253], v[244:245], v[182:183]
	v_mul_f64 v[182:183], v[134:135], v[182:183]
	v_fma_f64 v[144:145], v[90:91], v[84:85], -v[88:89]
	ds_load_2addr_b64 v[88:91], v218 offset0:108 offset1:198
	v_fma_f64 v[156:157], v[150:151], v[84:85], v[86:87]
	v_fma_f64 v[150:151], v[92:93], v[94:95], -v[102:103]
	v_fma_f64 v[158:159], v[152:153], v[94:95], v[96:97]
	ds_load_2addr_b64 v[92:95], v228 offset0:8 offset1:98
	v_fma_f64 v[162:163], v[188:189], v[108:109], v[110:111]
	s_waitcnt vmcnt(16) lgkmcnt(2)
	v_mul_f64 v[188:189], v[82:83], v[186:187]
	v_fma_f64 v[164:165], v[98:99], v[108:109], -v[154:155]
	v_fma_f64 v[154:155], v[100:101], v[136:137], -v[160:161]
	v_mul_f64 v[186:187], v[130:131], v[186:187]
	v_fma_f64 v[160:161], v[190:191], v[136:137], v[138:139]
	s_waitcnt vmcnt(15)
	v_mul_f64 v[190:191], v[80:81], v[26:27]
	v_fma_f64 v[166:167], v[104:105], v[140:141], -v[166:167]
	v_fma_f64 v[140:141], v[234:235], v[140:141], v[142:143]
	s_waitcnt vmcnt(14) lgkmcnt(1)
	v_mul_f64 v[254:255], v[90:91], v[209:210]
	v_mul_f64 v[209:210], v[122:123], v[209:210]
	s_waitcnt vmcnt(13)
	v_mul_f64 v[234:235], v[88:89], v[30:31]
	v_fma_f64 v[142:143], v[236:237], v[146:147], v[148:149]
	ds_load_2addr_b64 v[96:99], v225 offset0:36 offset1:126
	ds_load_2addr_b64 v[100:103], v222 offset0:132 offset1:222
	v_fma_f64 v[152:153], v[106:107], v[146:147], -v[194:195]
	ds_load_2addr_b64 v[104:107], v226 offset0:160 offset1:250
	ds_load_2addr_b64 v[108:111], v224 offset0:60 offset1:150
	v_fma_f64 v[148:149], v[112:113], v[168:169], -v[246:247]
	s_waitcnt vmcnt(12) lgkmcnt(4)
	v_mul_f64 v[236:237], v[92:93], v[34:35]
	v_fma_f64 v[146:147], v[114:115], v[172:173], -v[248:249]
	ds_load_2addr_b64 v[112:115], v227 offset0:88 offset1:178
	ds_load_2addr_b64 v[84:87], v214 offset0:52 offset1:142
	s_waitcnt vmcnt(11)
	v_mul_f64 v[215:216], v[94:95], v[232:233]
	v_fma_f64 v[136:137], v[238:239], v[168:169], v[170:171]
	v_mul_f64 v[232:233], v[118:119], v[232:233]
	v_fma_f64 v[138:139], v[240:241], v[172:173], v[174:175]
	v_mul_f64 v[170:171], v[128:129], v[26:27]
	v_fma_f64 v[168:169], v[132:133], v[176:177], -v[250:251]
	v_fma_f64 v[132:133], v[242:243], v[176:177], v[178:179]
	s_waitcnt vmcnt(8)
	v_mul_f64 v[174:175], v[8:9], v[66:67]
	s_waitcnt vmcnt(7)
	v_mul_f64 v[176:177], v[10:11], v[62:63]
	v_mul_f64 v[194:195], v[126:127], v[70:71]
	s_waitcnt lgkmcnt(5)
	v_mul_f64 v[246:247], v[98:99], v[70:71]
	s_waitcnt lgkmcnt(4)
	v_mul_f64 v[172:173], v[100:101], v[66:67]
	v_fma_f64 v[66:67], v[134:135], v[180:181], -v[252:253]
	v_mul_f64 v[134:135], v[102:103], v[62:63]
	v_fma_f64 v[62:63], v[244:245], v[180:181], v[182:183]
	v_mul_f64 v[182:183], v[120:121], v[30:31]
	s_waitcnt vmcnt(6) lgkmcnt(3)
	v_mul_f64 v[178:179], v[104:105], v[58:59]
	v_fma_f64 v[130:131], v[130:131], v[184:185], -v[188:189]
	s_waitcnt vmcnt(4) lgkmcnt(2)
	v_mul_f64 v[188:189], v[108:109], v[50:51]
	v_mul_f64 v[238:239], v[96:97], v[38:39]
	;; [unrolled: 1-line block ×3, first 2 shown]
	v_fma_f64 v[82:83], v[82:83], v[184:185], v[186:187]
	v_mul_f64 v[184:185], v[106:107], v[54:55]
	v_mul_f64 v[186:187], v[14:15], v[54:55]
	v_fma_f64 v[70:71], v[122:123], v[207:208], -v[254:255]
	s_waitcnt vmcnt(3) lgkmcnt(1)
	v_mul_f64 v[122:123], v[112:113], v[42:43]
	v_fma_f64 v[54:55], v[128:129], v[24:25], -v[190:191]
	v_mul_f64 v[128:129], v[116:117], v[34:35]
	v_fma_f64 v[58:59], v[90:91], v[207:208], v[209:210]
	v_mul_f64 v[90:91], v[16:17], v[50:51]
	v_fma_f64 v[50:51], v[120:121], v[28:29], -v[234:235]
	s_waitcnt vmcnt(2)
	v_mul_f64 v[120:121], v[110:111], v[46:47]
	v_mul_f64 v[42:43], v[20:21], v[42:43]
	;; [unrolled: 1-line block ×3, first 2 shown]
	v_fma_f64 v[34:35], v[116:117], v[32:33], -v[236:237]
	s_waitcnt vmcnt(1)
	v_mul_f64 v[116:117], v[114:115], v[74:75]
	v_mul_f64 v[74:75], v[22:23], v[74:75]
	v_fma_f64 v[46:47], v[118:119], v[230:231], -v[215:216]
	v_mul_f64 v[118:119], v[124:125], v[38:39]
	v_fma_f64 v[38:39], v[94:95], v[230:231], v[232:233]
	s_waitcnt vmcnt(0) lgkmcnt(0)
	v_mul_f64 v[94:95], v[86:87], v[78:79]
	v_fma_f64 v[24:25], v[80:81], v[24:25], v[170:171]
	v_mul_f64 v[78:79], v[6:7], v[78:79]
	v_add_f64 v[252:253], v[136:137], -v[140:141]
	v_fma_f64 v[30:31], v[126:127], v[68:69], -v[246:247]
	v_fma_f64 v[68:69], v[98:99], v[68:69], v[194:195]
	v_fma_f64 v[80:81], v[8:9], v[64:65], -v[172:173]
	v_fma_f64 v[64:65], v[100:101], v[64:65], v[174:175]
	;; [unrolled: 2-line block ×4, first 2 shown]
	v_fma_f64 v[16:17], v[16:17], v[48:49], -v[188:189]
	v_fma_f64 v[26:27], v[124:125], v[36:37], -v[238:239]
	v_fma_f64 v[56:57], v[104:105], v[56:57], v[180:181]
	v_add_f64 v[134:135], v[146:147], -v[152:153]
	v_fma_f64 v[100:101], v[14:15], v[52:53], -v[184:185]
	v_fma_f64 v[52:53], v[106:107], v[52:53], v[186:187]
	v_add_f64 v[102:103], v[130:131], -v[70:71]
	v_fma_f64 v[20:21], v[20:21], v[40:41], -v[122:123]
	v_add_f64 v[188:189], v[154:155], -v[150:151]
	v_fma_f64 v[32:33], v[92:93], v[32:33], v[128:129]
	v_add_f64 v[127:128], v[150:151], -v[154:155]
	v_fma_f64 v[48:49], v[108:109], v[48:49], v[90:91]
	v_add_f64 v[90:91], v[160:161], v[142:143]
	v_fma_f64 v[18:19], v[18:19], v[44:45], -v[120:121]
	v_fma_f64 v[12:13], v[112:113], v[40:41], v[42:43]
	v_fma_f64 v[14:15], v[110:111], v[44:45], v[190:191]
	v_add_f64 v[40:41], v[164:165], v[166:167]
	v_fma_f64 v[22:23], v[22:23], v[72:73], -v[116:117]
	v_fma_f64 v[10:11], v[114:115], v[72:73], v[74:75]
	v_add_f64 v[42:43], v[144:145], v[148:149]
	v_add_f64 v[44:45], v[154:155], v[152:153]
	;; [unrolled: 1-line block ×3, first 2 shown]
	v_add_f64 v[112:113], v[70:71], -v[130:131]
	v_add_f64 v[120:121], v[58:59], -v[82:83]
	v_fma_f64 v[8:9], v[96:97], v[36:37], v[118:119]
	v_fma_f64 v[6:7], v[6:7], v[76:77], -v[94:95]
	v_fma_f64 v[36:37], v[86:87], v[76:77], v[78:79]
	v_add_f64 v[74:75], v[50:51], v[34:35]
	v_add_f64 v[78:79], v[162:163], v[140:141]
	;; [unrolled: 1-line block ×3, first 2 shown]
	v_add_f64 v[114:115], v[46:47], -v[30:31]
	v_add_f64 v[122:123], v[38:39], -v[68:69]
	v_add_f64 v[92:93], v[158:159], v[138:139]
	v_add_f64 v[94:95], v[144:145], -v[164:165]
	v_add_f64 v[96:97], v[148:149], -v[166:167]
	;; [unrolled: 1-line block ×6, first 2 shown]
	v_add_f64 v[76:77], v[54:55], v[26:27]
	v_add_f64 v[116:117], v[164:165], -v[144:145]
	v_add_f64 v[118:119], v[166:167], -v[148:149]
	;; [unrolled: 1-line block ×11, first 2 shown]
	v_and_b32_e32 v124, 0xffff, v205
	v_add_f64 v[186:187], v[12:13], -v[48:49]
	v_add_f64 v[230:231], v[48:49], -v[12:13]
	v_lshlrev_b32_e32 v125, 3, v206
	v_add_f64 v[238:239], v[22:23], -v[18:19]
	ds_load_2addr_b64 v[205:208], v213 offset1:90
	v_mul_u32_u24_e32 v124, 0xf0, v124
	v_add_f64 v[110:111], v[0:1], v[144:145]
	v_add_f64 v[244:245], v[50:51], -v[54:55]
	v_add_f64 v[246:247], v[34:35], -v[26:27]
	v_fma_f64 v[40:41], v[40:41], -0.5, v[0:1]
	v_add3_u32 v124, 0, v124, v125
	v_add_f64 v[125:126], v[2:3], v[150:151]
	v_fma_f64 v[0:1], v[42:43], -0.5, v[0:1]
	v_fma_f64 v[42:43], v[44:45], -0.5, v[2:3]
	;; [unrolled: 1-line block ×3, first 2 shown]
	v_add_f64 v[44:45], v[52:53], -v[60:61]
	v_add_f64 v[72:73], v[14:15], -v[10:11]
	v_add_f64 v[112:113], v[112:113], v[114:115]
	v_add_f64 v[114:115], v[100:101], v[18:19]
	;; [unrolled: 1-line block ×7, first 2 shown]
	s_waitcnt lgkmcnt(0)
	v_add_f64 v[182:183], v[205:206], v[156:157]
	v_add_f64 v[184:185], v[207:208], v[158:159]
	v_add_f64 v[240:241], v[60:61], -v[52:53]
	v_add_f64 v[242:243], v[10:11], -v[14:15]
	;; [unrolled: 1-line block ×4, first 2 shown]
	v_fma_f64 v[74:75], v[74:75], -0.5, v[4:5]
	v_add_f64 v[170:171], v[170:171], v[172:173]
	v_add_f64 v[172:173], v[82:83], v[68:69]
	v_fma_f64 v[4:5], v[76:77], -0.5, v[4:5]
	v_add_f64 v[76:77], v[156:157], -v[162:163]
	v_fma_f64 v[78:79], v[78:79], -0.5, v[205:206]
	v_fma_f64 v[86:87], v[86:87], -0.5, v[205:206]
	;; [unrolled: 1-line block ×4, first 2 shown]
	v_add_f64 v[205:206], v[162:163], -v[156:157]
	v_add_f64 v[207:208], v[140:141], -v[136:137]
	v_add_f64 v[254:255], v[70:71], v[46:47]
	v_add_f64 v[94:95], v[94:95], v[96:97]
	;; [unrolled: 1-line block ×23, first 2 shown]
	v_add_f64 v[129:130], v[130:131], -v[30:31]
	v_add_f64 v[44:45], v[44:45], v[72:73]
	v_add_f64 v[72:73], v[132:133], v[64:65]
	v_fma_f64 v[114:115], v[114:115], -0.5, v[66:67]
	v_fma_f64 v[66:67], v[122:123], -0.5, v[66:67]
	v_add_f64 v[240:241], v[240:241], v[242:243]
	v_fma_f64 v[122:123], v[172:173], -0.5, v[36:37]
	v_fma_f64 v[36:37], v[134:135], -0.5, v[36:37]
	v_add_f64 v[134:135], v[62:63], v[60:61]
	v_add_f64 v[242:243], v[70:71], -v[46:47]
	v_add_f64 v[248:249], v[248:249], v[250:251]
	v_add_f64 v[250:251], v[58:59], -v[38:39]
	;; [unrolled: 2-line block ×4, first 2 shown]
	v_fma_f64 v[254:255], v[254:255], -0.5, v[6:7]
	v_fma_f64 v[6:7], v[96:97], -0.5, v[6:7]
	v_add_f64 v[96:97], v[138:139], -v[142:143]
	v_add_f64 v[70:71], v[104:105], v[70:71]
	v_add_f64 v[104:105], v[142:143], -v[138:139]
	v_add_f64 v[82:83], v[82:83], -v[68:69]
	v_fma_f64 v[108:109], v[108:109], -0.5, v[168:169]
	v_fma_f64 v[118:119], v[118:119], -0.5, v[168:169]
	v_add_f64 v[168:169], v[24:25], -v[28:29]
	v_add_f64 v[172:173], v[8:9], -v[32:33]
	v_fma_f64 v[190:191], v[190:191], -0.5, v[132:133]
	v_fma_f64 v[131:132], v[209:210], -0.5, v[132:133]
	v_add_f64 v[110:111], v[110:111], v[164:165]
	v_add_f64 v[80:81], v[80:81], -v[20:21]
	v_add_f64 v[58:59], v[186:187], v[58:59]
	v_add_f64 v[186:187], v[28:29], -v[24:25]
	v_add_f64 v[209:210], v[32:33], -v[8:9]
	v_add_f64 v[230:231], v[230:231], v[88:89]
	v_fma_f64 v[234:235], v[234:235], -0.5, v[62:63]
	v_fma_f64 v[62:63], v[238:239], -0.5, v[62:63]
	v_add_f64 v[238:239], v[56:57], -v[48:49]
	v_add_f64 v[88:89], v[88:89], -v[16:17]
	;; [unrolled: 1-line block ×3, first 2 shown]
	v_add_f64 v[246:247], v[246:247], v[100:101]
	v_add_f64 v[56:57], v[72:73], v[56:57]
	v_add_f64 v[72:73], v[52:53], -v[14:15]
	v_add_f64 v[100:101], v[100:101], -v[18:19]
	v_add_f64 v[98:99], v[98:99], -v[22:23]
	v_add_f64 v[164:165], v[164:165], -v[166:167]
	v_add_f64 v[176:177], v[28:29], v[32:33]
	v_add_f64 v[52:53], v[134:135], v[52:53]
	v_fma_f64 v[133:134], v[129:130], s[0:1], v[36:37]
	v_add_f64 v[178:179], v[24:25], v[8:9]
	v_add_f64 v[182:183], v[182:183], v[162:163]
	v_add_f64 v[162:163], v[162:163], -v[140:141]
	v_add_f64 v[60:61], v[60:61], -v[10:11]
	;; [unrolled: 1-line block ×3, first 2 shown]
	v_fma_f64 v[36:37], v[129:130], s[20:21], v[36:37]
	v_and_b32_e32 v135, 0xffff, v201
	v_add_f64 v[184:185], v[184:185], v[160:161]
	v_add_f64 v[96:97], v[252:253], v[96:97]
	v_fma_f64 v[252:253], v[250:251], s[0:1], v[6:7]
	v_fma_f64 v[6:7], v[250:251], s[20:21], v[6:7]
	v_add_f64 v[104:105], v[207:208], v[104:105]
	v_fma_f64 v[207:208], v[242:243], s[20:21], v[122:123]
	v_fma_f64 v[122:123], v[242:243], s[0:1], v[122:123]
	v_add_f64 v[46:47], v[70:71], v[46:47]
	v_add_f64 v[168:169], v[168:169], v[172:173]
	v_fma_f64 v[172:173], v[82:83], s[20:21], v[254:255]
	v_fma_f64 v[254:255], v[82:83], s[0:1], v[254:255]
	v_add_f64 v[110:111], v[110:111], v[166:167]
	v_fma_f64 v[166:167], v[80:81], s[0:1], v[131:132]
	v_add_f64 v[160:161], v[160:161], -v[142:143]
	v_fma_f64 v[131:132], v[80:81], s[20:21], v[131:132]
	v_add_f64 v[186:187], v[186:187], v[209:210]
	v_add_f64 v[16:17], v[230:231], v[16:17]
	v_add_f64 v[158:159], v[158:159], -v[138:139]
	v_add_f64 v[125:126], v[125:126], v[154:155]
	v_fma_f64 v[70:71], v[238:239], s[20:21], v[118:119]
	v_fma_f64 v[209:210], v[88:89], s[20:21], v[190:191]
	;; [unrolled: 1-line block ×6, first 2 shown]
	v_add_f64 v[180:181], v[180:181], v[50:51]
	v_add_f64 v[154:155], v[154:155], -v[152:153]
	v_add_f64 v[18:19], v[246:247], v[18:19]
	v_fma_f64 v[176:177], v[176:177], -0.5, v[84:85]
	v_add_f64 v[144:145], v[144:145], -v[148:149]
	v_fma_f64 v[133:134], v[242:243], s[12:13], v[133:134]
	v_fma_f64 v[178:179], v[178:179], -0.5, v[84:85]
	v_add_f64 v[84:85], v[84:85], v[24:25]
	v_add_f64 v[24:25], v[24:25], -v[8:9]
	v_add_f64 v[150:151], v[150:151], -v[146:147]
	;; [unrolled: 1-line block ×3, first 2 shown]
	v_fma_f64 v[36:37], v[242:243], s[16:17], v[36:37]
	v_add_f64 v[54:55], v[54:55], -v[26:27]
	v_add_f64 v[38:39], v[58:59], v[38:39]
	v_add_f64 v[58:59], v[182:183], v[140:141]
	v_fma_f64 v[201:202], v[82:83], s[16:17], v[252:253]
	v_fma_f64 v[6:7], v[82:83], s[12:13], v[6:7]
	v_fma_f64 v[82:83], v[100:101], s[20:21], v[234:235]
	v_fma_f64 v[207:208], v[129:130], s[12:13], v[207:208]
	v_fma_f64 v[122:123], v[129:130], s[16:17], v[122:123]
	v_fma_f64 v[129:130], v[98:99], s[0:1], v[62:63]
	v_fma_f64 v[252:253], v[72:73], s[20:21], v[66:67]
	v_fma_f64 v[172:173], v[250:251], s[16:17], v[172:173]
	v_fma_f64 v[250:251], v[250:251], s[12:13], v[254:255]
	v_mul_u32_u24_e32 v254, 0xf0, v203
	v_fma_f64 v[166:167], v[88:89], s[12:13], v[166:167]
	v_lshlrev_b32_e32 v255, 3, v204
	v_fma_f64 v[66:67], v[72:73], s[0:1], v[66:67]
	v_fma_f64 v[234:235], v[100:101], s[0:1], v[234:235]
	;; [unrolled: 1-line block ×20, first 2 shown]
	v_add_f64 v[84:85], v[84:85], v[28:29]
	v_add_f64 v[28:29], v[28:29], -v[32:33]
	v_fma_f64 v[62:63], v[98:99], s[20:21], v[62:63]
	v_add_f64 v[125:126], v[125:126], v[152:153]
	v_fma_f64 v[36:37], v[106:107], s[14:15], v[36:37]
	v_fma_f64 v[152:153], v[24:25], s[20:21], v[74:75]
	v_add_f64 v[34:35], v[180:181], v[34:35]
	v_fma_f64 v[6:7], v[112:113], s[14:15], v[6:7]
	v_fma_f64 v[82:83], v[98:99], s[12:13], v[82:83]
	;; [unrolled: 1-line block ×6, first 2 shown]
	v_add_f64 v[110:111], v[110:111], v[148:149]
	v_fma_f64 v[250:251], v[102:103], s[14:15], v[250:251]
	v_fma_f64 v[102:103], v[102:103], s[14:15], v[172:173]
	;; [unrolled: 1-line block ×3, first 2 shown]
	v_add_f64 v[30:31], v[46:47], v[30:31]
	v_fma_f64 v[60:61], v[60:61], s[16:17], v[66:67]
	v_fma_f64 v[66:67], v[98:99], s[16:17], v[234:235]
	;; [unrolled: 1-line block ×16, first 2 shown]
	v_mul_f64 v[120:121], v[133:134], s[16:17]
	v_fma_f64 v[108:109], v[170:171], s[14:15], v[108:109]
	v_fma_f64 v[162:163], v[158:159], s[16:17], v[238:239]
	v_fma_f64 v[2:3], v[158:159], s[12:13], v[2:3]
	v_fma_f64 v[80:81], v[215:216], s[14:15], v[80:81]
	v_fma_f64 v[246:247], v[28:29], s[0:1], v[4:5]
	v_fma_f64 v[4:5], v[28:29], s[20:21], v[4:5]
	v_fma_f64 v[88:89], v[174:175], s[14:15], v[88:89]
	v_fma_f64 v[62:63], v[100:101], s[16:17], v[62:63]
	v_add_f64 v[46:47], v[125:126], v[146:147]
	v_add_f64 v[16:17], v[16:17], v[20:21]
	;; [unrolled: 1-line block ×3, first 2 shown]
	v_fma_f64 v[82:83], v[44:45], s[14:15], v[82:83]
	v_mul_f64 v[122:123], v[207:208], s[20:21]
	v_fma_f64 v[56:57], v[144:145], s[0:1], v[78:79]
	v_fma_f64 v[106:107], v[240:241], s[14:15], v[129:130]
	v_fma_f64 v[114:115], v[248:249], s[14:15], v[242:243]
	v_mul_f64 v[129:130], v[6:7], s[14:15]
	v_mul_f64 v[158:159], v[250:251], s[18:19]
	v_fma_f64 v[78:79], v[144:145], s[20:21], v[78:79]
	v_mul_f64 v[160:161], v[166:167], s[16:17]
	v_add_f64 v[32:33], v[84:85], v[32:33]
	v_fma_f64 v[60:61], v[248:249], s[14:15], v[60:61]
	v_fma_f64 v[44:45], v[44:45], s[14:15], v[66:67]
	;; [unrolled: 1-line block ×5, first 2 shown]
	v_mul_f64 v[172:173], v[70:71], s[14:15]
	v_mul_f64 v[170:171], v[203:204], s[20:21]
	;; [unrolled: 1-line block ×3, first 2 shown]
	v_fma_f64 v[125:126], v[116:117], s[14:15], v[230:231]
	v_fma_f64 v[42:43], v[127:128], s[14:15], v[42:43]
	;; [unrolled: 1-line block ×4, first 2 shown]
	v_add_f64 v[118:119], v[184:185], v[142:143]
	v_fma_f64 v[116:117], v[94:95], s[14:15], v[156:157]
	v_fma_f64 v[40:41], v[94:95], s[14:15], v[40:41]
	;; [unrolled: 1-line block ×4, first 2 shown]
	v_add_f64 v[18:19], v[18:19], v[22:23]
	v_fma_f64 v[142:143], v[188:189], s[14:15], v[162:163]
	v_fma_f64 v[2:3], v[188:189], s[14:15], v[2:3]
	v_add_f64 v[22:23], v[34:35], v[26:27]
	v_fma_f64 v[20:21], v[24:25], s[16:17], v[246:247]
	v_fma_f64 v[4:5], v[24:25], s[12:13], v[4:5]
	;; [unrolled: 1-line block ×6, first 2 shown]
	v_add_f64 v[26:27], v[110:111], v[30:31]
	v_mul_f64 v[94:95], v[82:83], s[20:21]
	v_fma_f64 v[122:123], v[98:99], s[14:15], v[122:123]
	v_add_f64 v[30:31], v[110:111], -v[30:31]
	v_mul_f64 v[66:67], v[106:107], s[16:17]
	v_mul_f64 v[140:141], v[114:115], s[14:15]
	v_fma_f64 v[129:130], v[112:113], s[20:21], -v[129:130]
	v_fma_f64 v[146:147], v[36:37], s[16:17], -v[158:159]
	v_fma_f64 v[158:159], v[150:151], s[0:1], v[90:91]
	v_fma_f64 v[127:128], v[108:109], s[18:19], v[160:161]
	;; [unrolled: 1-line block ×6, first 2 shown]
	v_add_f64 v[34:35], v[46:47], v[16:17]
	v_add_f64 v[16:17], v[46:47], -v[16:17]
	v_fma_f64 v[152:153], v[80:81], s[20:21], -v[172:173]
	v_fma_f64 v[148:149], v[64:65], s[14:15], v[170:171]
	v_fma_f64 v[156:157], v[88:89], s[16:17], -v[174:175]
	v_fma_f64 v[170:171], v[50:51], s[20:21], v[178:179]
	v_fma_f64 v[172:173], v[50:51], s[0:1], v[178:179]
	v_mul_f64 v[74:75], v[100:101], s[18:19]
	v_fma_f64 v[56:57], v[164:165], s[12:13], v[56:57]
	v_mul_f64 v[102:103], v[102:103], s[12:13]
	v_fma_f64 v[78:79], v[164:165], s[16:17], v[78:79]
	v_fma_f64 v[84:85], v[144:145], s[12:13], v[84:85]
	;; [unrolled: 1-line block ×3, first 2 shown]
	v_add_f64 v[110:111], v[116:117], v[120:121]
	v_add_f64 v[116:117], v[116:117], -v[120:121]
	v_mul_f64 v[36:37], v[36:37], s[18:19]
	v_mul_u32_u24_e32 v135, 0xf0, v135
	s_barrier
	buffer_gl0_inv
	v_fma_f64 v[20:21], v[244:245], s[14:15], v[20:21]
	v_add3_u32 v135, 0, v135, v211
	v_fma_f64 v[28:29], v[232:233], s[14:15], v[28:29]
	v_mul_f64 v[108:109], v[108:109], s[12:13]
	v_mul_f64 v[80:81], v[80:81], s[14:15]
	v_mul_f64 v[88:89], v[88:89], s[18:19]
	v_mul_f64 v[64:65], v[64:65], s[0:1]
	v_fma_f64 v[24:25], v[232:233], s[14:15], v[24:25]
	v_fma_f64 v[46:47], v[72:73], s[18:19], v[66:67]
	;; [unrolled: 1-line block ×3, first 2 shown]
	v_fma_f64 v[94:95], v[44:45], s[20:21], -v[140:141]
	v_add_f64 v[140:141], v[125:126], v[122:123]
	v_add_f64 v[120:121], v[0:1], v[129:130]
	v_add_f64 v[122:123], v[125:126], -v[122:123]
	v_add_f64 v[125:126], v[40:41], v[146:147]
	v_add_f64 v[0:1], v[0:1], -v[129:130]
	v_add_f64 v[40:41], v[40:41], -v[146:147]
	v_add_f64 v[129:130], v[131:132], v[127:128]
	v_add_f64 v[127:128], v[131:132], -v[127:128]
	v_fma_f64 v[144:145], v[154:155], s[12:13], v[158:159]
	v_add_f64 v[174:175], v[2:3], v[152:153]
	v_add_f64 v[146:147], v[142:143], v[148:149]
	;; [unrolled: 1-line block ×3, first 2 shown]
	v_add_f64 v[131:132], v[142:143], -v[148:149]
	v_fma_f64 v[90:91], v[154:155], s[16:17], v[90:91]
	v_fma_f64 v[154:155], v[150:151], s[12:13], v[160:161]
	v_add_f64 v[2:3], v[2:3], -v[152:153]
	v_add_f64 v[42:43], v[42:43], -v[156:157]
	v_fma_f64 v[92:93], v[150:151], s[16:17], v[92:93]
	v_add_f64 v[150:151], v[22:23], v[18:19]
	v_add_f64 v[18:19], v[22:23], -v[18:19]
	v_mul_f64 v[22:23], v[98:99], s[0:1]
	v_mul_f64 v[98:99], v[112:113], s[14:15]
	v_fma_f64 v[74:75], v[62:63], s[16:17], -v[74:75]
	ds_store_2addr_b64 v124, v[26:27], v[110:111] offset1:3
	ds_store_2addr_b64 v124, v[140:141], v[120:121] offset0:6 offset1:9
	ds_store_2addr_b64 v124, v[125:126], v[30:31] offset0:12 offset1:15
	;; [unrolled: 1-line block ×4, first 2 shown]
	ds_store_2addr_b64 v135, v[34:35], v[129:130] offset1:3
	ds_store_2addr_b64 v135, v[146:147], v[174:175] offset0:6 offset1:9
	ds_store_2addr_b64 v135, v[178:179], v[16:17] offset0:12 offset1:15
	v_add_f64 v[0:1], v[52:53], v[14:15]
	v_mul_f64 v[30:31], v[44:45], s[14:15]
	v_fma_f64 v[40:41], v[50:51], s[16:17], v[176:177]
	v_mul_f64 v[44:45], v[62:63], s[18:19]
	v_fma_f64 v[142:143], v[50:51], s[12:13], v[162:163]
	v_fma_f64 v[148:149], v[54:55], s[12:13], v[170:171]
	v_mul_f64 v[16:17], v[72:73], s[12:13]
	v_mul_f64 v[26:27], v[60:61], s[0:1]
	v_fma_f64 v[14:15], v[54:55], s[16:17], v[172:173]
	v_fma_f64 v[4:5], v[244:245], s[14:15], v[4:5]
	ds_store_2addr_b64 v135, v[127:128], v[131:132] offset0:18 offset1:21
	ds_store_2addr_b64 v135, v[2:3], v[42:43] offset0:24 offset1:27
	v_add_f64 v[38:39], v[38:39], v[68:69]
	v_fma_f64 v[42:43], v[133:134], s[18:19], v[102:103]
	v_add_f64 v[50:51], v[58:59], v[136:137]
	v_fma_f64 v[52:53], v[76:77], s[14:15], v[56:57]
	v_fma_f64 v[54:55], v[76:77], s[14:15], v[78:79]
	;; [unrolled: 1-line block ×5, first 2 shown]
	v_fma_f64 v[60:61], v[6:7], s[0:1], -v[98:99]
	v_fma_f64 v[36:37], v[250:251], s[12:13], -v[36:37]
	v_add_f64 v[152:153], v[20:21], v[66:67]
	v_add_f64 v[34:35], v[28:29], v[74:75]
	v_add_f64 v[20:21], v[20:21], -v[66:67]
	v_add_f64 v[28:29], v[28:29], -v[74:75]
	v_add_f64 v[62:63], v[118:119], v[138:139]
	v_fma_f64 v[66:67], v[96:97], s[14:15], v[144:145]
	v_fma_f64 v[68:69], v[96:97], s[14:15], v[90:91]
	v_add_f64 v[12:13], v[48:49], v[12:13]
	v_fma_f64 v[72:73], v[166:167], s[18:19], v[108:109]
	v_fma_f64 v[74:75], v[104:105], s[14:15], v[92:93]
	v_fma_f64 v[70:71], v[70:71], s[0:1], -v[80:81]
	v_fma_f64 v[76:77], v[209:210], s[12:13], -v[88:89]
	v_add_f64 v[8:9], v[32:33], v[8:9]
	v_fma_f64 v[48:49], v[104:105], s[14:15], v[154:155]
	v_fma_f64 v[64:65], v[203:204], s[14:15], v[64:65]
	v_add_f64 v[112:113], v[24:25], v[46:47]
	v_add_f64 v[24:25], v[24:25], -v[46:47]
	v_add_f64 v[10:11], v[0:1], v[10:11]
	v_fma_f64 v[30:31], v[114:115], s[0:1], -v[30:31]
	v_fma_f64 v[40:41], v[168:169], s[14:15], v[40:41]
	v_fma_f64 v[80:81], v[100:101], s[12:13], -v[44:45]
	v_fma_f64 v[32:33], v[168:169], s[14:15], v[142:143]
	v_fma_f64 v[78:79], v[186:187], s[14:15], v[148:149]
	v_fma_f64 v[16:17], v[106:107], s[18:19], v[16:17]
	v_fma_f64 v[26:27], v[82:83], s[14:15], v[26:27]
	v_fma_f64 v[14:15], v[186:187], s[14:15], v[14:15]
	v_add_f64 v[156:157], v[4:5], v[94:95]
	v_add_f64 v[4:5], v[4:5], -v[94:95]
	v_add3_u32 v120, 0, v254, v255
	v_mul_lo_u16 v121, 0x89, v198
	v_add_f64 v[82:83], v[50:51], v[38:39]
	v_add_f64 v[84:85], v[52:53], v[42:43]
	v_add_f64 v[86:87], v[50:51], -v[38:39]
	v_add_f64 v[88:89], v[52:53], -v[42:43]
	v_lshrrev_b16 v230, 12, v121
	v_add_f64 v[90:91], v[56:57], v[22:23]
	v_add_f64 v[94:95], v[58:59], v[60:61]
	;; [unrolled: 1-line block ×3, first 2 shown]
	v_add_f64 v[92:93], v[56:57], -v[22:23]
	v_add_f64 v[60:61], v[58:59], -v[60:61]
	;; [unrolled: 1-line block ×3, first 2 shown]
	v_mul_lo_u16 v121, 0x89, v199
	v_add_nc_u32_e32 v253, 0x5a, v212
	v_add_nc_u32_e32 v254, 0xb4, v212
	v_add_f64 v[100:101], v[62:63], v[12:13]
	v_add_f64 v[102:103], v[66:67], v[72:73]
	v_add_f64 v[66:67], v[66:67], -v[72:73]
	v_add_f64 v[104:105], v[74:75], v[70:71]
	v_add_f64 v[70:71], v[74:75], -v[70:71]
	;; [unrolled: 2-line block ×3, first 2 shown]
	v_add_f64 v[72:73], v[48:49], v[64:65]
	ds_store_2addr_b64 v120, v[150:151], v[112:113] offset1:3
	v_add_f64 v[62:63], v[62:63], -v[12:13]
	v_add_f64 v[106:107], v[8:9], -v[10:11]
	v_add_f64 v[76:77], v[8:9], v[10:11]
	v_add_f64 v[64:65], v[48:49], -v[64:65]
	v_add_f64 v[116:117], v[40:41], v[80:81]
	v_add_f64 v[80:81], v[40:41], -v[80:81]
	v_lshrrev_b16 v231, 12, v121
	v_add_f64 v[108:109], v[32:33], v[16:17]
	v_add_f64 v[110:111], v[78:79], v[26:27]
	v_add_f64 v[114:115], v[32:33], -v[16:17]
	v_add_f64 v[78:79], v[78:79], -v[26:27]
	v_add_f64 v[112:113], v[14:15], v[30:31]
	v_add_f64 v[118:119], v[14:15], -v[30:31]
	ds_store_2addr_b64 v120, v[152:153], v[156:157] offset0:6 offset1:9
	ds_store_2addr_b64 v120, v[34:35], v[18:19] offset0:12 offset1:15
	;; [unrolled: 1-line block ×4, first 2 shown]
	s_waitcnt lgkmcnt(0)
	s_barrier
	buffer_gl0_inv
	ds_load_2addr_b64 v[4:7], v213 offset1:90
	ds_load_2addr_b64 v[0:3], v214 offset0:52 offset1:142
	ds_load_2addr_b64 v[44:47], v217 offset0:28 offset1:118
	;; [unrolled: 1-line block ×14, first 2 shown]
	s_waitcnt lgkmcnt(0)
	s_barrier
	buffer_gl0_inv
	ds_store_2addr_b64 v124, v[82:83], v[84:85] offset1:3
	v_mul_lo_u16 v82, v230, 30
	ds_store_2addr_b64 v124, v[90:91], v[94:95] offset0:6 offset1:9
	ds_store_2addr_b64 v124, v[96:97], v[86:87] offset0:12 offset1:15
	;; [unrolled: 1-line block ×4, first 2 shown]
	v_mul_lo_u16 v61, v231, 30
	ds_store_2addr_b64 v135, v[100:101], v[102:103] offset1:3
	ds_store_2addr_b64 v135, v[72:73], v[104:105] offset0:6 offset1:9
	ds_store_2addr_b64 v135, v[74:75], v[62:63] offset0:12 offset1:15
	;; [unrolled: 1-line block ×3, first 2 shown]
	v_sub_nc_u16 v60, v212, v82
	v_sub_nc_u16 v61, v253, v61
	ds_store_2addr_b64 v135, v[70:71], v[68:69] offset0:24 offset1:27
	ds_store_2addr_b64 v120, v[76:77], v[108:109] offset1:3
	ds_store_2addr_b64 v120, v[110:111], v[112:113] offset0:6 offset1:9
	v_and_b32_e32 v232, 0xff, v60
	v_and_b32_e32 v233, 0xff, v61
	ds_store_2addr_b64 v120, v[116:117], v[106:107] offset0:12 offset1:15
	ds_store_2addr_b64 v120, v[114:115], v[78:79] offset0:18 offset1:21
	ds_store_2addr_b64 v120, v[118:119], v[80:81] offset0:24 offset1:27
	s_waitcnt lgkmcnt(0)
	s_barrier
	v_mul_u32_u24_e32 v60, 9, v232
	v_mul_u32_u24_e32 v61, 9, v233
	buffer_gl0_inv
	v_mul_u32_u24_e32 v68, 0x8889, v200
	v_and_b32_e32 v230, 0xffff, v230
	v_lshlrev_b32_e32 v156, 4, v60
	v_lshlrev_b32_e32 v136, 4, v61
	s_clause 0x7
	global_load_b128 v[60:63], v156, s[8:9] offset:448
	global_load_b128 v[64:67], v136, s[8:9] offset:448
	;; [unrolled: 1-line block ×8, first 2 shown]
	v_lshrrev_b32_e32 v234, 20, v68
	global_load_b128 v[80:83], v156, s[8:9] offset:544
	v_mul_lo_u16 v68, v234, 30
	v_mul_u32_u24_e32 v250, 0x960, v234
	s_delay_alu instid0(VALU_DEP_2) | instskip(NEXT) | instid1(VALU_DEP_1)
	v_sub_nc_u16 v68, v254, v68
	v_and_b32_e32 v235, 0xffff, v68
	s_delay_alu instid0(VALU_DEP_1) | instskip(SKIP_1) | instid1(VALU_DEP_2)
	v_mul_u32_u24_e32 v68, 9, v235
	v_lshlrev_b32_e32 v251, 3, v235
	v_lshlrev_b32_e32 v157, 4, v68
	s_clause 0x11
	global_load_b128 v[100:103], v157, s[8:9] offset:432
	global_load_b128 v[84:87], v156, s[8:9] offset:464
	;; [unrolled: 1-line block ×18, first 2 shown]
	ds_load_2addr_b64 v[188:191], v217 offset0:28 offset1:118
	ds_load_2addr_b64 v[184:187], v229 offset0:56 offset1:146
	;; [unrolled: 1-line block ×7, first 2 shown]
	v_add3_u32 v250, 0, v250, v251
	s_waitcnt vmcnt(26) lgkmcnt(6)
	v_mul_f64 v[200:201], v[188:189], v[62:63]
	s_waitcnt vmcnt(25)
	v_mul_f64 v[198:199], v[190:191], v[66:67]
	v_mul_f64 v[194:195], v[46:47], v[66:67]
	s_waitcnt vmcnt(24) lgkmcnt(5)
	v_mul_f64 v[204:205], v[184:185], v[110:111]
	v_mul_f64 v[206:207], v[56:57], v[110:111]
	;; [unrolled: 1-line block ×3, first 2 shown]
	s_waitcnt vmcnt(23)
	v_mul_f64 v[110:111], v[186:187], v[106:107]
	s_waitcnt vmcnt(22) lgkmcnt(4)
	v_mul_f64 v[208:209], v[176:177], v[98:99]
	v_mul_f64 v[210:211], v[52:53], v[98:99]
	s_waitcnt vmcnt(20)
	v_mul_f64 v[98:99], v[178:179], v[90:91]
	v_mul_f64 v[90:91], v[54:55], v[90:91]
	;; [unrolled: 1-line block ×3, first 2 shown]
	s_waitcnt vmcnt(18) lgkmcnt(3)
	v_mul_f64 v[62:63], v[180:181], v[82:83]
	v_mul_f64 v[66:67], v[48:49], v[82:83]
	;; [unrolled: 1-line block ×4, first 2 shown]
	s_waitcnt lgkmcnt(2)
	v_mul_f64 v[240:241], v[172:173], v[74:75]
	v_mul_f64 v[74:75], v[40:41], v[74:75]
	v_fma_f64 v[215:216], v[44:45], v[60:61], -v[200:201]
	v_fma_f64 v[242:243], v[46:47], v[64:65], -v[198:199]
	v_fma_f64 v[64:65], v[190:191], v[64:65], v[194:195]
	s_waitcnt vmcnt(17)
	v_mul_f64 v[194:195], v[174:175], v[102:103]
	v_mul_f64 v[102:103], v[42:43], v[102:103]
	v_fma_f64 v[244:245], v[56:57], v[108:109], -v[204:205]
	v_fma_f64 v[108:109], v[184:185], v[108:109], v[206:207]
	s_waitcnt vmcnt(16) lgkmcnt(1)
	v_mul_f64 v[184:185], v[170:171], v[86:87]
	v_mul_f64 v[206:207], v[38:39], v[86:87]
	v_fma_f64 v[60:61], v[188:189], v[60:61], v[202:203]
	ds_load_2addr_b64 v[198:201], v222 offset0:132 offset1:222
	ds_load_2addr_b64 v[188:191], v228 offset0:8 offset1:98
	v_fma_f64 v[110:111], v[58:59], v[104:105], -v[110:111]
	ds_load_2addr_b64 v[56:59], v225 offset0:36 offset1:126
	ds_load_2addr_b64 v[202:205], v226 offset0:160 offset1:250
	v_fma_f64 v[208:209], v[52:53], v[96:97], -v[208:209]
	v_fma_f64 v[98:99], v[54:55], v[88:89], -v[98:99]
	ds_load_2addr_b64 v[52:55], v224 offset0:60 offset1:150
	v_fma_f64 v[90:91], v[178:179], v[88:89], v[90:91]
	ds_load_2addr_b64 v[86:89], v227 offset0:88 offset1:178
	v_fma_f64 v[104:105], v[186:187], v[104:105], v[106:107]
	s_waitcnt vmcnt(15)
	v_mul_f64 v[106:107], v[168:169], v[70:71]
	s_waitcnt vmcnt(14) lgkmcnt(6)
	v_mul_f64 v[186:187], v[238:239], v[114:115]
	v_fma_f64 v[96:97], v[176:177], v[96:97], v[210:211]
	v_mul_f64 v[114:115], v[30:31], v[114:115]
	s_waitcnt vmcnt(13)
	v_mul_f64 v[176:177], v[236:237], v[94:95]
	v_fma_f64 v[62:63], v[48:49], v[80:81], -v[62:63]
	v_fma_f64 v[66:67], v[180:181], v[80:81], v[66:67]
	v_fma_f64 v[50:51], v[50:51], v[76:77], -v[82:83]
	v_fma_f64 v[44:45], v[182:183], v[76:77], v[78:79]
	s_waitcnt vmcnt(10) lgkmcnt(5)
	v_mul_f64 v[76:77], v[198:199], v[130:131]
	s_waitcnt lgkmcnt(4)
	v_mul_f64 v[178:179], v[190:191], v[118:119]
	v_mul_f64 v[118:119], v[22:23], v[118:119]
	;; [unrolled: 1-line block ×4, first 2 shown]
	s_waitcnt vmcnt(8) lgkmcnt(3)
	v_mul_f64 v[130:131], v[56:57], v[134:135]
	v_mul_f64 v[82:83], v[200:201], v[126:127]
	v_fma_f64 v[40:41], v[40:41], v[72:73], -v[240:241]
	v_fma_f64 v[72:73], v[172:173], v[72:73], v[74:75]
	v_mul_f64 v[74:75], v[34:35], v[126:127]
	s_waitcnt vmcnt(7) lgkmcnt(2)
	v_mul_f64 v[126:127], v[202:203], v[150:151]
	v_fma_f64 v[42:43], v[42:43], v[100:101], -v[194:195]
	v_fma_f64 v[100:101], v[174:175], v[100:101], v[102:103]
	s_waitcnt vmcnt(6)
	v_mul_f64 v[102:103], v[58:59], v[166:167]
	v_mul_f64 v[166:167], v[10:11], v[166:167]
	v_fma_f64 v[38:39], v[38:39], v[84:85], -v[184:185]
	v_fma_f64 v[84:85], v[170:171], v[84:85], v[206:207]
	s_waitcnt vmcnt(4) lgkmcnt(1)
	v_mul_f64 v[170:171], v[52:53], v[142:143]
	s_waitcnt vmcnt(3) lgkmcnt(0)
	v_mul_f64 v[174:175], v[86:87], v[146:147]
	v_mul_f64 v[70:71], v[36:37], v[70:71]
	;; [unrolled: 1-line block ×5, first 2 shown]
	ds_load_2addr_b64 v[46:49], v214 offset0:52 offset1:142
	v_mul_f64 v[94:95], v[28:29], v[94:95]
	v_mul_f64 v[172:173], v[204:205], v[154:155]
	;; [unrolled: 1-line block ×4, first 2 shown]
	v_add_f64 v[182:183], v[110:111], -v[242:243]
	v_fma_f64 v[106:107], v[36:37], v[68:69], -v[106:107]
	v_fma_f64 v[30:31], v[30:31], v[112:113], -v[186:187]
	v_and_b32_e32 v36, 0xffff, v231
	v_fma_f64 v[112:113], v[238:239], v[112:113], v[114:115]
	v_mul_f64 v[114:115], v[20:21], v[122:123]
	s_waitcnt vmcnt(2)
	v_mul_f64 v[122:123], v[54:55], v[138:139]
	v_fma_f64 v[28:29], v[28:29], v[92:93], -v[176:177]
	v_mul_f64 v[138:139], v[18:19], v[138:139]
	v_add_f64 v[184:185], v[98:99], -v[50:51]
	v_fma_f64 v[32:33], v[32:33], v[128:129], -v[76:77]
	v_fma_f64 v[22:23], v[22:23], v[116:117], -v[178:179]
	v_fma_f64 v[116:117], v[190:191], v[116:117], v[118:119]
	s_waitcnt vmcnt(1)
	v_mul_f64 v[118:119], v[88:89], v[162:163]
	v_mul_f64 v[162:163], v[14:15], v[162:163]
	v_fma_f64 v[20:21], v[20:21], v[120:121], -v[80:81]
	s_waitcnt vmcnt(0) lgkmcnt(0)
	v_mul_f64 v[80:81], v[48:49], v[158:159]
	v_mul_f64 v[158:159], v[2:3], v[158:159]
	v_fma_f64 v[130:131], v[8:9], v[132:133], -v[130:131]
	v_fma_f64 v[34:35], v[34:35], v[124:125], -v[82:83]
	v_fma_f64 v[24:25], v[24:25], v[148:149], -v[126:127]
	v_fma_f64 v[74:75], v[200:201], v[124:125], v[74:75]
	v_add_f64 v[124:125], v[108:109], v[96:97]
	v_fma_f64 v[102:103], v[10:11], v[164:165], -v[102:103]
	v_fma_f64 v[58:59], v[58:59], v[164:165], v[166:167]
	v_add_f64 v[126:127], v[60:61], v[66:67]
	v_add_f64 v[164:165], v[50:51], -v[98:99]
	v_fma_f64 v[16:17], v[16:17], v[140:141], -v[170:171]
	v_fma_f64 v[12:13], v[12:13], v[144:145], -v[174:175]
	v_fma_f64 v[68:69], v[168:169], v[68:69], v[70:71]
	v_fma_f64 v[70:71], v[198:199], v[128:129], v[78:79]
	;; [unrolled: 1-line block ×6, first 2 shown]
	v_fma_f64 v[26:27], v[26:27], v[152:153], -v[172:173]
	v_fma_f64 v[82:83], v[204:205], v[152:153], v[154:155]
	v_fma_f64 v[56:57], v[56:57], v[132:133], v[134:135]
	v_add_f64 v[128:129], v[104:105], v[90:91]
	v_add_f64 v[132:133], v[64:65], v[44:45]
	v_add_f64 v[134:135], v[215:216], -v[244:245]
	v_add_f64 v[152:153], v[244:245], -v[215:216]
	;; [unrolled: 1-line block ×3, first 2 shown]
	v_fma_f64 v[92:93], v[188:189], v[120:121], v[114:115]
	v_fma_f64 v[18:19], v[18:19], v[136:137], -v[122:123]
	v_add_f64 v[154:155], v[208:209], -v[62:63]
	v_fma_f64 v[54:55], v[54:55], v[136:137], v[138:139]
	v_add_f64 v[136:137], v[62:63], -v[208:209]
	v_add_f64 v[94:95], v[215:216], v[62:63]
	v_add_f64 v[114:115], v[110:111], v[98:99]
	v_add_f64 v[194:195], v[106:107], -v[28:29]
	v_fma_f64 v[14:15], v[14:15], v[160:161], -v[118:119]
	v_fma_f64 v[88:89], v[88:89], v[160:161], v[162:163]
	v_add_f64 v[120:121], v[28:29], v[20:21]
	v_fma_f64 v[2:3], v[2:3], v[156:157], -v[80:81]
	v_fma_f64 v[48:49], v[48:49], v[156:157], v[158:159]
	v_add_f64 v[122:123], v[106:107], v[130:131]
	v_add_f64 v[156:157], v[112:113], -v[84:85]
	v_add_f64 v[80:81], v[244:245], v[208:209]
	v_add_f64 v[118:119], v[242:243], v[50:51]
	v_add_f64 v[162:163], v[242:243], -v[110:111]
	v_add_f64 v[166:167], v[32:33], -v[24:25]
	v_add_f64 v[144:145], v[58:59], -v[116:117]
	v_add_f64 v[158:159], v[116:117], -v[58:59]
	v_add_f64 v[180:181], v[24:25], -v[32:33]
	v_add_f64 v[198:199], v[130:131], -v[20:21]
	v_add_f64 v[168:169], v[12:13], -v[16:17]
	v_add_f64 v[186:187], v[16:17], -v[12:13]
	v_mul_u32_u24_e32 v8, 0x960, v36
	v_add_f64 v[188:189], v[78:79], -v[70:71]
	v_lshlrev_b32_e32 v9, 3, v233
	v_add_f64 v[190:191], v[52:53], -v[86:87]
	v_mul_u32_u24_e32 v37, 0x960, v230
	v_lshlrev_b32_e32 v176, 3, v232
	v_add_f64 v[138:139], v[38:39], -v[30:31]
	v_add3_u32 v36, 0, v8, v9
	ds_load_2addr_b64 v[8:11], v213 offset1:90
	v_add_f64 v[140:141], v[102:103], -v[22:23]
	v_add3_u32 v37, 0, v37, v176
	v_add_f64 v[148:149], v[30:31], -v[38:39]
	v_add_f64 v[150:151], v[22:23], -v[102:103]
	v_add_f64 v[174:175], v[0:1], v[106:107]
	v_add_f64 v[200:201], v[34:35], -v[26:27]
	v_add_f64 v[204:205], v[74:75], -v[82:83]
	v_add_f64 v[152:153], v[152:153], v[154:155]
	v_add_f64 v[134:135], v[134:135], v[136:137]
	;; [unrolled: 1-line block ×5, first 2 shown]
	v_add_f64 v[202:203], v[14:15], -v[18:19]
	v_add_f64 v[206:207], v[88:89], -v[54:55]
	v_fma_f64 v[120:121], v[120:121], -0.5, v[0:1]
	v_add_f64 v[154:155], v[34:35], v[14:15]
	v_add_f64 v[170:171], v[70:71], -v[78:79]
	v_fma_f64 v[0:1], v[122:123], -0.5, v[0:1]
	v_add_f64 v[122:123], v[2:3], v[38:39]
	s_waitcnt lgkmcnt(0)
	v_add_f64 v[176:177], v[8:9], v[60:61]
	v_add_f64 v[178:179], v[10:11], v[64:65]
	v_fma_f64 v[124:125], v[124:125], -0.5, v[8:9]
	v_fma_f64 v[8:9], v[126:127], -0.5, v[8:9]
	;; [unrolled: 1-line block ×4, first 2 shown]
	v_add_f64 v[128:129], v[24:25], v[16:17]
	v_add_f64 v[132:133], v[32:33], v[12:13]
	;; [unrolled: 1-line block ×6, first 2 shown]
	v_add_f64 v[172:173], v[86:87], -v[52:53]
	v_add_f64 v[210:211], v[26:27], -v[34:35]
	;; [unrolled: 1-line block ×7, first 2 shown]
	v_fma_f64 v[80:81], v[80:81], -0.5, v[4:5]
	v_fma_f64 v[4:5], v[94:95], -0.5, v[4:5]
	;; [unrolled: 1-line block ×4, first 2 shown]
	v_add_f64 v[114:115], v[30:31], v[22:23]
	v_add_f64 v[118:119], v[38:39], v[102:103]
	;; [unrolled: 1-line block ×4, first 2 shown]
	v_add_f64 v[240:241], v[60:61], -v[108:109]
	v_add_f64 v[246:247], v[66:67], -v[96:97]
	v_add_f64 v[166:167], v[166:167], v[168:169]
	v_add_f64 v[168:169], v[48:49], v[84:85]
	;; [unrolled: 1-line block ×10, first 2 shown]
	v_add_f64 v[248:249], v[30:31], -v[22:23]
	v_add_f64 v[138:139], v[138:139], v[140:141]
	v_add_f64 v[140:141], v[24:25], -v[16:17]
	v_add_f64 v[148:149], v[148:149], v[150:151]
	v_add_f64 v[150:151], v[42:43], v[34:35]
	;; [unrolled: 1-line block ×3, first 2 shown]
	v_add_f64 v[202:203], v[108:109], -v[60:61]
	v_add_f64 v[204:205], v[204:205], v[206:207]
	v_add_f64 v[206:207], v[96:97], -v[66:67]
	v_add_f64 v[38:39], v[38:39], -v[102:103]
	v_add_f64 v[30:31], v[122:123], v[30:31]
	v_add_f64 v[122:123], v[76:77], v[92:93]
	v_fma_f64 v[128:129], v[128:129], -0.5, v[40:41]
	v_fma_f64 v[40:41], v[132:133], -0.5, v[40:41]
	v_add_f64 v[132:133], v[68:69], v[56:57]
	v_add_f64 v[24:25], v[136:137], v[24:25]
	v_add_f64 v[136:137], v[68:69], -v[76:77]
	v_fma_f64 v[144:145], v[144:145], -0.5, v[42:43]
	v_fma_f64 v[42:43], v[154:155], -0.5, v[42:43]
	v_add_f64 v[154:155], v[56:57], -v[92:93]
	v_fma_f64 v[158:159], v[158:159], -0.5, v[48:49]
	v_add_f64 v[170:171], v[170:171], v[172:173]
	v_add_f64 v[172:173], v[112:113], -v[116:117]
	v_add_f64 v[230:231], v[230:231], v[232:233]
	v_add_f64 v[232:233], v[64:65], -v[104:105]
	;; [unrolled: 2-line block ×3, first 2 shown]
	v_add_f64 v[236:237], v[236:237], v[238:239]
	v_add_f64 v[238:239], v[72:73], v[70:71]
	v_fma_f64 v[114:115], v[114:115], -0.5, v[2:3]
	v_fma_f64 v[2:3], v[118:119], -0.5, v[2:3]
	;; [unrolled: 1-line block ×3, first 2 shown]
	v_add_f64 v[84:85], v[84:85], -v[58:59]
	v_add_f64 v[240:241], v[240:241], v[246:247]
	v_add_f64 v[246:247], v[104:105], -v[64:65]
	v_add_f64 v[118:119], v[90:91], -v[44:45]
	;; [unrolled: 1-line block ×3, first 2 shown]
	v_add_f64 v[164:165], v[100:101], v[74:75]
	v_add_f64 v[112:113], v[168:169], v[112:113]
	v_add_f64 v[168:169], v[76:77], -v[68:69]
	v_fma_f64 v[184:185], v[184:185], -0.5, v[72:73]
	v_fma_f64 v[72:73], v[186:187], -0.5, v[72:73]
	v_add_f64 v[186:187], v[92:93], -v[56:57]
	v_add_f64 v[146:147], v[146:147], v[244:245]
	v_fma_f64 v[190:191], v[190:191], -0.5, v[100:101]
	v_fma_f64 v[100:101], v[198:199], -0.5, v[100:101]
	v_add_f64 v[198:199], v[78:79], -v[52:53]
	v_add_f64 v[202:203], v[202:203], v[206:207]
	v_add_f64 v[206:207], v[46:47], v[68:69]
	;; [unrolled: 1-line block ×3, first 2 shown]
	v_add_f64 v[26:27], v[26:27], -v[18:19]
	v_add_f64 v[70:71], v[70:71], -v[86:87]
	;; [unrolled: 1-line block ×3, first 2 shown]
	v_add_f64 v[160:161], v[160:161], v[110:111]
	v_fma_f64 v[122:123], v[122:123], -0.5, v[46:47]
	v_fma_f64 v[46:47], v[132:133], -0.5, v[46:47]
	v_add_f64 v[176:177], v[176:177], v[108:109]
	v_add_f64 v[132:133], v[136:137], v[154:155]
	v_fma_f64 v[136:137], v[38:39], s[0:1], v[158:159]
	v_add_f64 v[74:75], v[74:75], -v[88:89]
	v_add_f64 v[178:179], v[178:179], v[104:105]
	v_add_f64 v[108:109], v[108:109], -v[96:97]
	v_add_f64 v[60:61], v[60:61], -v[66:67]
	;; [unrolled: 1-line block ×3, first 2 shown]
	v_add_f64 v[232:233], v[232:233], v[234:235]
	v_add_f64 v[234:235], v[244:245], -v[208:209]
	v_add_f64 v[78:79], v[238:239], v[78:79]
	v_add_f64 v[238:239], v[82:83], -v[54:55]
	v_fma_f64 v[244:245], v[172:173], s[20:21], v[2:3]
	v_fma_f64 v[154:155], v[248:249], s[20:21], v[48:49]
	v_add_f64 v[110:111], v[110:111], -v[98:99]
	v_add_f64 v[22:23], v[30:31], v[22:23]
	v_add_f64 v[16:17], v[24:25], v[16:17]
	;; [unrolled: 1-line block ×3, first 2 shown]
	v_fma_f64 v[246:247], v[84:85], s[0:1], v[114:115]
	v_add_f64 v[82:83], v[164:165], v[82:83]
	v_fma_f64 v[24:25], v[84:85], s[20:21], v[114:115]
	v_add_f64 v[30:31], v[112:113], v[116:117]
	v_fma_f64 v[2:3], v[172:173], s[0:1], v[2:3]
	v_fma_f64 v[48:49], v[248:249], s[0:1], v[48:49]
	v_add_f64 v[164:165], v[168:169], v[186:187]
	v_fma_f64 v[168:169], v[32:33], s[0:1], v[72:73]
	v_add_f64 v[146:147], v[146:147], v[208:209]
	v_fma_f64 v[186:187], v[140:141], s[20:21], v[184:185]
	v_fma_f64 v[208:209], v[198:199], s[20:21], v[40:41]
	;; [unrolled: 1-line block ×3, first 2 shown]
	v_add_f64 v[64:65], v[64:65], -v[44:45]
	v_add_f64 v[18:19], v[150:151], v[18:19]
	v_add_f64 v[174:175], v[174:175], v[28:29]
	v_fma_f64 v[114:115], v[70:71], s[0:1], v[128:129]
	v_fma_f64 v[158:159], v[34:35], s[0:1], v[100:101]
	v_add_f64 v[98:99], v[160:161], v[98:99]
	v_fma_f64 v[160:161], v[26:27], s[20:21], v[190:191]
	v_fma_f64 v[40:41], v[198:199], s[0:1], v[40:41]
	;; [unrolled: 3-line block ×3, first 2 shown]
	v_fma_f64 v[176:177], v[74:75], s[0:1], v[144:145]
	v_fma_f64 v[184:185], v[140:141], s[0:1], v[184:185]
	v_add_f64 v[90:91], v[178:179], v[90:91]
	v_add_f64 v[206:207], v[206:207], v[76:77]
	v_add_f64 v[76:77], v[76:77], -v[92:93]
	v_add_f64 v[68:69], v[68:69], -v[56:57]
	v_fma_f64 v[112:113], v[108:109], s[0:1], v[4:5]
	v_fma_f64 v[4:5], v[108:109], s[20:21], v[4:5]
	;; [unrolled: 1-line block ×5, first 2 shown]
	v_add_f64 v[52:53], v[78:79], v[52:53]
	v_fma_f64 v[78:79], v[104:105], s[0:1], v[6:7]
	v_fma_f64 v[6:7], v[104:105], s[20:21], v[6:7]
	;; [unrolled: 1-line block ×17, first 2 shown]
	v_add_f64 v[28:29], v[28:29], -v[20:21]
	v_fma_f64 v[114:115], v[198:199], s[12:13], v[114:115]
	v_fma_f64 v[84:85], v[26:27], s[12:13], v[158:159]
	v_add_f64 v[20:21], v[174:175], v[20:21]
	v_fma_f64 v[116:117], v[34:35], s[12:13], v[160:161]
	v_fma_f64 v[174:175], v[64:65], s[20:21], v[94:95]
	v_add_f64 v[54:55], v[82:83], v[54:55]
	v_fma_f64 v[82:83], v[198:199], s[16:17], v[128:129]
	v_fma_f64 v[136:137], v[142:143], s[14:15], v[136:137]
	;; [unrolled: 1-line block ×5, first 2 shown]
	v_add_f64 v[215:216], v[215:216], -v[62:63]
	v_add_f64 v[242:243], v[242:243], -v[50:51]
	v_fma_f64 v[94:95], v[64:65], s[0:1], v[94:95]
	v_add_f64 v[92:93], v[206:207], v[92:93]
	v_fma_f64 v[206:207], v[76:77], s[0:1], v[0:1]
	v_fma_f64 v[150:151], v[74:75], s[12:13], v[150:151]
	;; [unrolled: 1-line block ×20, first 2 shown]
	v_add_f64 v[106:107], v[106:107], -v[130:131]
	v_fma_f64 v[120:121], v[68:69], s[0:1], v[120:121]
	v_fma_f64 v[80:81], v[108:109], s[12:13], v[80:81]
	;; [unrolled: 1-line block ×9, first 2 shown]
	v_mul_f64 v[116:117], v[136:137], s[16:17]
	v_fma_f64 v[114:115], v[200:201], s[14:15], v[158:159]
	v_fma_f64 v[144:145], v[104:105], s[16:17], v[174:175]
	;; [unrolled: 1-line block ×9, first 2 shown]
	v_mul_f64 v[140:141], v[160:161], s[14:15]
	v_mul_f64 v[138:139], v[154:155], s[20:21]
	v_add_f64 v[62:63], v[146:147], v[62:63]
	v_add_f64 v[22:23], v[22:23], v[102:103]
	v_add_f64 v[50:51], v[98:99], v[50:51]
	v_add_f64 v[12:13], v[16:17], v[12:13]
	v_mul_f64 v[142:143], v[176:177], s[18:19]
	v_fma_f64 v[16:17], v[104:105], s[12:13], v[94:95]
	v_fma_f64 v[94:95], v[68:69], s[16:17], v[206:207]
	;; [unrolled: 1-line block ×6, first 2 shown]
	v_mul_f64 v[148:149], v[70:71], s[16:17]
	v_add_f64 v[14:15], v[18:19], v[14:15]
	v_mul_f64 v[150:151], v[128:129], s[20:21]
	v_mul_f64 v[156:157], v[168:169], s[14:15]
	v_fma_f64 v[60:61], v[134:135], s[14:15], v[60:61]
	v_add_f64 v[18:19], v[20:21], v[130:131]
	v_fma_f64 v[184:185], v[234:235], s[20:21], v[8:9]
	v_fma_f64 v[8:9], v[234:235], s[0:1], v[8:9]
	v_mul_f64 v[102:103], v[74:75], s[18:19]
	v_mul_f64 v[104:105], v[84:85], s[16:17]
	v_fma_f64 v[126:127], v[242:243], s[20:21], v[126:127]
	v_fma_f64 v[198:199], v[110:111], s[20:21], v[10:11]
	;; [unrolled: 1-line block ×10, first 2 shown]
	v_mul_f64 v[112:113], v[100:101], s[20:21]
	v_fma_f64 v[80:81], v[134:135], s[14:15], v[80:81]
	v_fma_f64 v[26:27], v[204:205], s[14:15], v[26:27]
	v_mul_f64 v[134:135], v[114:115], s[18:19]
	v_mul_f64 v[120:121], v[108:109], s[14:15]
	v_fma_f64 v[140:141], v[38:39], s[20:21], -v[140:141]
	v_fma_f64 v[138:139], v[2:3], s[14:15], v[138:139]
	v_fma_f64 v[144:145], v[162:163], s[14:15], v[144:145]
	;; [unrolled: 1-line block ×5, first 2 shown]
	v_fma_f64 v[142:143], v[48:49], s[16:17], -v[142:143]
	v_fma_f64 v[166:167], v[28:29], s[20:21], v[46:47]
	v_fma_f64 v[46:47], v[28:29], s[0:1], v[46:47]
	v_add_f64 v[20:21], v[30:31], v[58:59]
	v_add_f64 v[30:31], v[96:97], v[66:67]
	v_fma_f64 v[58:59], v[234:235], s[12:13], v[178:179]
	v_fma_f64 v[66:67], v[234:235], s[16:17], v[124:125]
	;; [unrolled: 1-line block ×5, first 2 shown]
	v_fma_f64 v[150:151], v[32:33], s[20:21], -v[156:157]
	v_add_f64 v[152:153], v[62:63], v[22:23]
	v_add_f64 v[22:23], v[62:63], -v[22:23]
	v_add_f64 v[62:63], v[50:51], v[12:13]
	v_fma_f64 v[16:17], v[162:163], s[14:15], v[16:17]
	v_mul_f64 v[24:25], v[24:25], s[12:13]
	v_fma_f64 v[102:103], v[64:65], s[16:17], -v[102:103]
	v_fma_f64 v[68:69], v[194:195], s[14:15], v[68:69]
	v_fma_f64 v[104:105], v[72:73], s[18:19], v[104:105]
	v_add_f64 v[12:13], v[50:51], -v[12:13]
	v_add_f64 v[50:51], v[18:19], v[14:15]
	v_add_f64 v[14:15], v[18:19], -v[14:15]
	v_add_f64 v[156:157], v[60:61], v[116:117]
	v_mul_f64 v[18:19], v[82:83], s[12:13]
	v_fma_f64 v[96:97], v[215:216], s[12:13], v[184:185]
	v_fma_f64 v[8:9], v[215:216], s[16:17], v[8:9]
	v_fma_f64 v[110:111], v[110:111], s[16:17], v[126:127]
	v_fma_f64 v[126:127], v[242:243], s[12:13], v[198:199]
	v_fma_f64 v[10:11], v[242:243], s[16:17], v[10:11]
	v_fma_f64 v[130:131], v[28:29], s[12:13], v[158:159]
	v_fma_f64 v[94:95], v[230:231], s[14:15], v[94:95]
	v_fma_f64 v[0:1], v[230:231], s[14:15], v[0:1]
	v_fma_f64 v[112:113], v[42:43], s[14:15], v[112:113]
	v_fma_f64 v[120:121], v[34:35], s[20:21], -v[120:121]
	v_add_f64 v[158:159], v[98:99], v[138:139]
	v_add_f64 v[162:163], v[4:5], v[140:141]
	v_mul_f64 v[2:3], v[2:3], s[0:1]
	v_mul_f64 v[38:39], v[38:39], s[14:15]
	;; [unrolled: 1-line block ×4, first 2 shown]
	v_fma_f64 v[76:77], v[194:195], s[14:15], v[76:77]
	v_fma_f64 v[134:135], v[26:27], s[16:17], -v[134:135]
	v_add_f64 v[170:171], v[80:81], v[142:143]
	v_mul_f64 v[48:49], v[48:49], s[18:19]
	v_mul_f64 v[64:65], v[64:65], s[18:19]
	v_add_f64 v[60:61], v[60:61], -v[116:117]
	v_add_f64 v[98:99], v[98:99], -v[138:139]
	;; [unrolled: 1-line block ×4, first 2 shown]
	v_add_f64 v[116:117], v[144:145], v[146:147]
	v_add_f64 v[138:139], v[78:79], v[148:149]
	;; [unrolled: 1-line block ×3, first 2 shown]
	v_fma_f64 v[28:29], v[28:29], s[16:17], v[122:123]
	v_fma_f64 v[122:123], v[106:107], s[12:13], v[166:167]
	;; [unrolled: 1-line block ×3, first 2 shown]
	v_mul_f64 v[72:73], v[72:73], s[12:13]
	v_mul_f64 v[42:43], v[42:43], s[0:1]
	;; [unrolled: 1-line block ×4, first 2 shown]
	v_add_nc_u32_e32 v251, 0x400, v37
	s_barrier
	buffer_gl0_inv
	v_fma_f64 v[24:25], v[136:137], s[18:19], v[24:25]
	v_add_f64 v[82:83], v[16:17], v[102:103]
	v_add_f64 v[16:17], v[16:17], -v[102:103]
	v_add_f64 v[102:103], v[68:69], v[104:105]
	ds_store_2addr_b64 v37, v[152:153], v[156:157] offset1:30
	ds_store_2addr_b64 v37, v[158:159], v[162:163] offset0:60 offset1:90
	ds_store_2addr_b64 v37, v[170:171], v[22:23] offset0:120 offset1:150
	;; [unrolled: 1-line block ×4, first 2 shown]
	ds_store_2addr_b64 v36, v[62:63], v[116:117] offset1:30
	ds_store_2addr_b64 v36, v[138:139], v[140:141] offset0:60 offset1:90
	v_fma_f64 v[4:5], v[240:241], s[14:15], v[58:59]
	v_add_f64 v[44:45], v[90:91], v[44:45]
	v_fma_f64 v[60:61], v[232:233], s[14:15], v[124:125]
	v_add_f64 v[52:53], v[52:53], v[86:87]
	v_fma_f64 v[18:19], v[70:71], s[18:19], v[18:19]
	v_add_f64 v[106:107], v[144:145], -v[146:147]
	v_add_f64 v[78:79], v[78:79], -v[148:149]
	v_add_f64 v[136:137], v[94:95], v[112:113]
	v_add_f64 v[142:143], v[0:1], v[120:121]
	v_fma_f64 v[22:23], v[240:241], s[14:15], v[66:67]
	v_fma_f64 v[58:59], v[202:203], s[14:15], v[96:97]
	;; [unrolled: 1-line block ×4, first 2 shown]
	v_fma_f64 v[38:39], v[160:161], s[0:1], -v[38:39]
	v_fma_f64 v[66:67], v[118:119], s[14:15], v[126:127]
	v_fma_f64 v[10:11], v[118:119], s[14:15], v[10:11]
	;; [unrolled: 1-line block ×3, first 2 shown]
	v_fma_f64 v[32:33], v[168:169], s[0:1], -v[32:33]
	v_add_f64 v[6:7], v[6:7], -v[150:151]
	v_add_f64 v[144:145], v[76:77], v[134:135]
	v_fma_f64 v[48:49], v[176:177], s[12:13], -v[48:49]
	v_fma_f64 v[62:63], v[232:233], s[14:15], v[110:111]
	v_fma_f64 v[64:65], v[74:75], s[12:13], -v[64:65]
	v_add_f64 v[68:69], v[68:69], -v[104:105]
	v_add_f64 v[94:95], v[94:95], -v[112:113]
	;; [unrolled: 1-line block ×4, first 2 shown]
	v_fma_f64 v[74:75], v[132:133], s[14:15], v[130:131]
	v_fma_f64 v[80:81], v[164:165], s[14:15], v[122:123]
	;; [unrolled: 1-line block ×5, first 2 shown]
	v_add_f64 v[56:57], v[92:93], v[56:57]
	v_add_f64 v[54:55], v[54:55], v[88:89]
	v_fma_f64 v[34:35], v[108:109], s[0:1], -v[34:35]
	v_add_nc_u32_e32 v252, 0x400, v36
	v_fma_f64 v[28:29], v[132:133], s[14:15], v[28:29]
	v_fma_f64 v[26:27], v[114:115], s[12:13], -v[26:27]
	v_add_nc_u32_e32 v122, 0x400, v250
	ds_store_2addr_b64 v36, v[82:83], v[12:13] offset0:120 offset1:150
	ds_store_2addr_b64 v36, v[106:107], v[78:79] offset0:180 offset1:210
	;; [unrolled: 1-line block ×3, first 2 shown]
	ds_store_2addr_b64 v250, v[50:51], v[102:103] offset1:30
	ds_store_2addr_b64 v250, v[136:137], v[142:143] offset0:60 offset1:90
	ds_store_2addr_b64 v250, v[144:145], v[14:15] offset0:120 offset1:150
	;; [unrolled: 1-line block ×4, first 2 shown]
	v_add_f64 v[50:51], v[30:31], v[20:21]
	v_add_f64 v[72:73], v[4:5], v[24:25]
	;; [unrolled: 1-line block ×8, first 2 shown]
	v_add_f64 v[76:77], v[30:31], -v[20:21]
	v_add_f64 v[90:91], v[22:23], v[48:49]
	v_add_f64 v[94:95], v[44:45], -v[52:53]
	v_add_f64 v[106:107], v[62:63], v[64:65]
	v_add_f64 v[78:79], v[4:5], -v[24:25]
	v_add_f64 v[84:85], v[58:59], -v[2:3]
	;; [unrolled: 1-line block ×8, first 2 shown]
	v_add_f64 v[114:115], v[74:75], v[46:47]
	v_add_f64 v[116:117], v[80:81], v[42:43]
	v_add_f64 v[74:75], v[74:75], -v[46:47]
	v_add_f64 v[42:43], v[80:81], -v[42:43]
	v_add_f64 v[110:111], v[56:57], v[54:55]
	v_dual_mov_b32 v199, 0 :: v_dual_lshlrev_b32 v198, 1, v212
	v_add_f64 v[118:119], v[86:87], v[34:35]
	v_add_f64 v[112:113], v[56:57], -v[54:55]
	v_add_f64 v[120:121], v[28:29], v[26:27]
	s_waitcnt lgkmcnt(0)
	s_barrier
	buffer_gl0_inv
	ds_load_2addr_b64 v[8:11], v213 offset1:90
	ds_load_2addr_b64 v[68:71], v222 offset0:132 offset1:222
	ds_load_2addr_b64 v[64:67], v228 offset0:8 offset1:98
	;; [unrolled: 1-line block ×8, first 2 shown]
	v_add_f64 v[80:81], v[86:87], -v[34:35]
	v_add_f64 v[86:87], v[28:29], -v[26:27]
	ds_load_2addr_b64 v[4:7], v217 offset0:28 offset1:118
	ds_load_2addr_b64 v[32:35], v226 offset0:160 offset1:250
	;; [unrolled: 1-line block ×6, first 2 shown]
	s_waitcnt lgkmcnt(0)
	s_barrier
	buffer_gl0_inv
	ds_store_2addr_b64 v37, v[50:51], v[72:73] offset1:30
	ds_store_2addr_b64 v37, v[82:83], v[88:89] offset0:60 offset1:90
	ds_store_2addr_b64 v37, v[90:91], v[76:77] offset0:120 offset1:150
	;; [unrolled: 1-line block ×4, first 2 shown]
	ds_store_2addr_b64 v36, v[92:93], v[96:97] offset1:30
	ds_store_2addr_b64 v36, v[100:101], v[102:103] offset0:60 offset1:90
	ds_store_2addr_b64 v36, v[106:107], v[94:95] offset0:120 offset1:150
	;; [unrolled: 1-line block ×3, first 2 shown]
	v_lshlrev_b64 v[36:37], 4, v[198:199]
	v_dual_mov_b32 v39, v199 :: v_dual_lshlrev_b32 v38, 1, v253
	v_add_nc_u32_e32 v134, 0x10e, v212
	v_subrev_nc_u32_e32 v48, 30, v212
	ds_store_2addr_b64 v252, v[104:105], v[108:109] offset0:112 offset1:142
	ds_store_2addr_b64 v250, v[110:111], v[114:115] offset1:30
	ds_store_2addr_b64 v250, v[116:117], v[118:119] offset0:60 offset1:90
	ds_store_2addr_b64 v250, v[120:121], v[112:113] offset0:120 offset1:150
	v_add_co_u32 v132, s0, s8, v36
	s_delay_alu instid0(VALU_DEP_1) | instskip(SKIP_1) | instid1(VALU_DEP_3)
	v_add_co_ci_u32_e64 v133, s0, s9, v37, s0
	v_lshlrev_b64 v[36:37], 4, v[38:39]
	v_add_co_u32 v38, s0, 0x1000, v132
	s_delay_alu instid0(VALU_DEP_1) | instskip(SKIP_2) | instid1(VALU_DEP_1)
	v_add_co_ci_u32_e64 v39, s0, 0, v133, s0
	ds_store_2addr_b64 v250, v[74:75], v[42:43] offset0:180 offset1:210
	v_add_co_u32 v135, s0, s8, v36
	v_add_co_ci_u32_e64 v136, s0, s9, v37, s0
	v_lshlrev_b32_e32 v42, 1, v254
	s_delay_alu instid0(VALU_DEP_3) | instskip(NEXT) | instid1(VALU_DEP_1)
	v_add_co_u32 v40, s0, 0x1000, v135
	v_add_co_ci_u32_e64 v41, s0, 0, v136, s0
	v_add_co_u32 v36, s0, 0x1290, v132
	s_delay_alu instid0(VALU_DEP_1)
	v_add_co_ci_u32_e64 v37, s0, 0, v133, s0
	v_cmp_gt_u32_e64 s0, 30, v212
	v_mov_b32_e32 v43, v199
	v_mov_b32_e32 v77, v199
	ds_store_2addr_b64 v122, v[80:81], v[86:87] offset0:112 offset1:142
	s_waitcnt lgkmcnt(0)
	v_cndmask_b32_e64 v145, v48, v134, s0
	v_add_co_u32 v72, s0, 0x1290, v135
	v_lshlrev_b64 v[74:75], 4, v[42:43]
	v_add_co_ci_u32_e64 v73, s0, 0, v136, s0
	s_delay_alu instid0(VALU_DEP_4)
	v_lshlrev_b32_e32 v76, 1, v145
	s_barrier
	buffer_gl0_inv
	s_clause 0x3
	global_load_b128 v[88:91], v[38:39], off offset:656
	global_load_b128 v[36:39], v[36:37], off offset:16
	;; [unrolled: 1-line block ×4, first 2 shown]
	v_add_co_u32 v140, s0, s8, v74
	v_lshlrev_b64 v[72:73], 4, v[76:77]
	v_add_co_ci_u32_e64 v141, s0, s9, v75, s0
	v_add_nc_u32_e32 v137, 0x21c, v212
	v_add_nc_u32_e32 v76, 0x78, v198
	;; [unrolled: 1-line block ×3, first 2 shown]
	v_add_co_u32 v78, s0, s8, v72
	s_delay_alu instid0(VALU_DEP_1) | instskip(SKIP_1) | instid1(VALU_DEP_1)
	v_add_co_ci_u32_e64 v79, s0, s9, v73, s0
	v_add_co_u32 v72, s0, 0x1000, v140
	v_add_co_ci_u32_e64 v73, s0, 0, v141, s0
	v_lshrrev_b16 v96, 2, v137
	v_add_co_u32 v80, s0, 0x1000, v78
	s_delay_alu instid0(VALU_DEP_1)
	v_add_co_ci_u32_e64 v81, s0, 0, v79, s0
	v_add_co_u32 v74, s0, 0x1290, v140
	v_lshlrev_b64 v[92:93], 4, v[76:77]
	v_and_b32_e32 v96, 0xffff, v96
	v_add_co_ci_u32_e64 v75, s0, 0, v141, s0
	v_add_co_u32 v82, s0, 0x1290, v78
	v_mov_b32_e32 v95, v199
	v_add_co_ci_u32_e64 v83, s0, 0, v79, s0
	v_add_co_u32 v98, s0, s8, v92
	v_mul_u32_u24_e32 v96, 0x6d3b, v96
	v_add_nc_u32_e32 v138, 0x276, v212
	v_add_co_ci_u32_e64 v99, s0, s9, v93, s0
	v_lshlrev_b64 v[92:93], 4, v[94:95]
	v_add_co_u32 v94, s0, 0x1000, v98
	v_lshrrev_b32_e32 v142, 21, v96
	v_lshrrev_b16 v96, 2, v138
	v_add_co_ci_u32_e64 v95, s0, 0, v99, s0
	v_add_co_u32 v104, s0, s8, v92
	s_delay_alu instid0(VALU_DEP_1) | instskip(NEXT) | instid1(VALU_DEP_4)
	v_add_co_ci_u32_e64 v105, s0, s9, v93, s0
	v_and_b32_e32 v93, 0xffff, v96
	v_mul_lo_u16 v92, 0x12c, v142
	s_delay_alu instid0(VALU_DEP_4) | instskip(SKIP_1) | instid1(VALU_DEP_4)
	v_add_co_u32 v96, s0, 0x1000, v104
	v_add_nc_u32_e32 v139, 0x2d0, v212
	v_mul_u32_u24_e32 v101, 0x6d3b, v93
	v_add_co_ci_u32_e64 v97, s0, 0, v105, s0
	v_sub_nc_u16 v100, v137, v92
	v_add_co_u32 v92, s0, 0x1290, v98
	s_delay_alu instid0(VALU_DEP_4) | instskip(SKIP_3) | instid1(VALU_DEP_4)
	v_lshrrev_b32_e32 v98, 21, v101
	v_lshrrev_b16 v108, 2, v139
	v_add_co_ci_u32_e64 v93, s0, 0, v99, s0
	v_add_nc_u32_e32 v144, 0x32a, v212
	v_mul_lo_u16 v107, 0x12c, v98
	v_add_co_u32 v98, s0, 0x1290, v104
	s_delay_alu instid0(VALU_DEP_1)
	v_add_co_ci_u32_e64 v99, s0, 0, v105, s0
	v_and_b32_e32 v105, 0xffff, v108
	v_and_b32_e32 v143, 0xffff, v100
	v_lshrrev_b16 v109, 2, v144
	v_sub_nc_u16 v104, v138, v107
	s_clause 0x1
	global_load_b128 v[76:79], v[72:73], off offset:656
	global_load_b128 v[72:75], v[74:75], off offset:16
	v_mul_u32_u24_e32 v108, 0x6d3b, v105
	v_lshlrev_b32_e32 v106, 5, v143
	v_and_b32_e32 v109, 0xffff, v109
	v_and_b32_e32 v146, 0xffff, v104
	s_clause 0x1
	global_load_b128 v[84:87], v[80:81], off offset:656
	global_load_b128 v[80:83], v[82:83], off offset:16
	v_lshrrev_b32_e32 v108, 21, v108
	s_clause 0x1
	global_load_b128 v[100:103], v[94:95], off offset:656
	global_load_b128 v[92:95], v[92:93], off offset:16
	v_add_co_u32 v106, s0, s8, v106
	s_clause 0x1
	global_load_b128 v[149:152], v[96:97], off offset:656
	global_load_b128 v[153:156], v[98:99], off offset:16
	v_mul_lo_u16 v96, 0x12c, v108
	v_mul_u32_u24_e32 v97, 0x6d3b, v109
	v_add_co_ci_u32_e64 v107, null, s9, 0, s0
	v_lshlrev_b32_e32 v110, 5, v146
	v_add_co_u32 v104, s0, 0x1000, v106
	v_sub_nc_u16 v108, v139, v96
	v_lshrrev_b32_e32 v109, 21, v97
	v_add_co_ci_u32_e64 v105, s0, 0, v107, s0
	v_add_co_u32 v98, s0, s8, v110
	s_delay_alu instid0(VALU_DEP_1) | instskip(SKIP_2) | instid1(VALU_DEP_4)
	v_add_co_ci_u32_e64 v99, null, s9, 0, s0
	v_and_b32_e32 v147, 0xffff, v108
	v_mul_lo_u16 v108, 0x12c, v109
	v_add_co_u32 v96, s0, 0x1000, v98
	s_delay_alu instid0(VALU_DEP_1) | instskip(NEXT) | instid1(VALU_DEP_3)
	v_add_co_ci_u32_e64 v97, s0, 0, v99, s0
	v_sub_nc_u16 v108, v144, v108
	v_add_co_u32 v106, s0, 0x1290, v106
	v_lshlrev_b32_e32 v109, 5, v147
	v_add_co_ci_u32_e64 v107, s0, 0, v107, s0
	v_add_co_u32 v112, s0, 0x1290, v98
	v_and_b32_e32 v148, 0xffff, v108
	v_add_co_ci_u32_e64 v113, s0, 0, v99, s0
	v_add_co_u32 v114, s0, s8, v109
	s_delay_alu instid0(VALU_DEP_1) | instskip(NEXT) | instid1(VALU_DEP_4)
	v_add_co_ci_u32_e64 v115, null, s9, 0, s0
	v_lshlrev_b32_e32 v108, 5, v148
	s_delay_alu instid0(VALU_DEP_3) | instskip(NEXT) | instid1(VALU_DEP_1)
	v_add_co_u32 v116, s0, 0x1000, v114
	v_add_co_ci_u32_e64 v117, s0, 0, v115, s0
	s_delay_alu instid0(VALU_DEP_3) | instskip(NEXT) | instid1(VALU_DEP_1)
	v_add_co_u32 v128, s0, s8, v108
	v_add_co_ci_u32_e64 v129, null, s9, 0, s0
	global_load_b128 v[96:99], v[96:97], off offset:656
	v_add_co_u32 v120, s0, 0x1000, v128
	s_delay_alu instid0(VALU_DEP_1)
	v_add_co_ci_u32_e64 v121, s0, 0, v129, s0
	v_add_co_u32 v122, s0, 0x1290, v114
	s_clause 0x1
	global_load_b128 v[108:111], v[104:105], off offset:656
	global_load_b128 v[104:107], v[106:107], off offset:16
	v_add_co_ci_u32_e64 v123, s0, 0, v115, s0
	s_clause 0x3
	global_load_b128 v[112:115], v[112:113], off offset:16
	global_load_b128 v[116:119], v[116:117], off offset:656
	;; [unrolled: 1-line block ×4, first 2 shown]
	v_add_co_u32 v128, s0, 0x1290, v128
	s_delay_alu instid0(VALU_DEP_1)
	v_add_co_ci_u32_e64 v129, s0, 0, v129, s0
	v_cmp_lt_u32_e64 s0, 29, v212
	global_load_b128 v[128:131], v[128:129], off offset:16
	ds_load_2addr_b64 v[157:160], v222 offset0:132 offset1:222
	ds_load_2addr_b64 v[161:164], v228 offset0:8 offset1:98
	;; [unrolled: 1-line block ×10, first 2 shown]
	v_cndmask_b32_e64 v191, 0, 0x1c20, s0
	s_waitcnt vmcnt(19) lgkmcnt(9)
	v_mul_f64 v[189:190], v[157:158], v[90:91]
	v_mul_f64 v[90:91], v[68:69], v[90:91]
	s_waitcnt vmcnt(17)
	v_mul_f64 v[194:195], v[159:160], v[50:51]
	s_waitcnt lgkmcnt(8)
	v_mul_f64 v[208:209], v[161:162], v[38:39]
	s_waitcnt vmcnt(16)
	v_mul_f64 v[210:211], v[163:164], v[42:43]
	v_mul_f64 v[244:245], v[70:71], v[50:51]
	;; [unrolled: 1-line block ×4, first 2 shown]
	v_fma_f64 v[42:43], v[68:69], v[88:89], -v[189:190]
	v_fma_f64 v[88:89], v[157:158], v[88:89], v[90:91]
	v_fma_f64 v[68:69], v[70:71], v[48:49], -v[194:195]
	v_fma_f64 v[64:65], v[64:65], v[36:37], -v[208:209]
	;; [unrolled: 1-line block ×3, first 2 shown]
	v_fma_f64 v[159:160], v[159:160], v[48:49], v[244:245]
	v_fma_f64 v[40:41], v[163:164], v[40:41], v[248:249]
	v_fma_f64 v[36:37], v[161:162], v[36:37], v[246:247]
	v_add_nc_u32_e32 v210, 0x1c00, v213
	s_waitcnt vmcnt(15) lgkmcnt(7)
	v_mul_f64 v[215:216], v[165:166], v[78:79]
	s_waitcnt vmcnt(14) lgkmcnt(6)
	v_mul_f64 v[232:233], v[169:170], v[74:75]
	v_mul_f64 v[74:75], v[56:57], v[74:75]
	;; [unrolled: 1-line block ×3, first 2 shown]
	s_waitcnt vmcnt(13)
	v_mul_f64 v[230:231], v[167:168], v[86:87]
	s_waitcnt vmcnt(12)
	v_mul_f64 v[234:235], v[171:172], v[82:83]
	s_waitcnt vmcnt(11) lgkmcnt(5)
	v_mul_f64 v[236:237], v[173:174], v[102:103]
	s_waitcnt vmcnt(10) lgkmcnt(4)
	v_mul_f64 v[240:241], v[177:178], v[94:95]
	v_mul_f64 v[70:71], v[52:53], v[102:103]
	s_waitcnt vmcnt(9)
	v_mul_f64 v[238:239], v[175:176], v[151:152]
	s_waitcnt vmcnt(8)
	v_mul_f64 v[242:243], v[179:180], v[155:156]
	v_mul_f64 v[82:83], v[58:59], v[82:83]
	;; [unrolled: 1-line block ×5, first 2 shown]
	v_fma_f64 v[60:61], v[60:61], v[76:77], -v[215:216]
	v_fma_f64 v[76:77], v[165:166], v[76:77], v[78:79]
	v_add_f64 v[165:166], v[159:160], v[40:41]
	v_fma_f64 v[38:39], v[62:63], v[84:85], -v[230:231]
	v_fma_f64 v[62:63], v[56:57], v[72:73], -v[232:233]
	;; [unrolled: 1-line block ×4, first 2 shown]
	v_fma_f64 v[72:73], v[169:170], v[72:73], v[74:75]
	v_fma_f64 v[56:57], v[54:55], v[149:150], -v[238:239]
	v_fma_f64 v[54:55], v[44:45], v[92:93], -v[240:241]
	;; [unrolled: 1-line block ×3, first 2 shown]
	v_mul_f64 v[46:47], v[46:47], v[155:156]
	v_add_f64 v[74:75], v[42:43], v[64:65]
	v_fma_f64 v[80:81], v[171:172], v[80:81], v[82:83]
	v_add_f64 v[82:83], v[68:69], v[66:67]
	v_fma_f64 v[78:79], v[167:168], v[84:85], v[86:87]
	v_fma_f64 v[70:71], v[173:174], v[100:101], v[70:71]
	s_waitcnt vmcnt(7) lgkmcnt(3)
	v_mul_f64 v[102:103], v[183:184], v[98:99]
	v_mul_f64 v[98:99], v[34:35], v[98:99]
	v_fma_f64 v[86:87], v[175:176], v[149:150], v[151:152]
	v_fma_f64 v[92:93], v[177:178], v[92:93], v[94:95]
	s_waitcnt vmcnt(6)
	v_mul_f64 v[90:91], v[181:182], v[110:111]
	s_waitcnt vmcnt(5) lgkmcnt(2)
	v_mul_f64 v[157:158], v[185:186], v[106:107]
	s_waitcnt vmcnt(4)
	v_mul_f64 v[189:190], v[187:188], v[114:115]
	s_waitcnt vmcnt(3) lgkmcnt(1)
	v_mul_f64 v[194:195], v[200:201], v[118:119]
	;; [unrolled: 4-line block ×3, first 2 shown]
	v_mul_f64 v[110:111], v[32:33], v[110:111]
	v_mul_f64 v[106:107], v[28:29], v[106:107]
	;; [unrolled: 1-line block ×6, first 2 shown]
	s_waitcnt vmcnt(0)
	v_mul_f64 v[155:156], v[206:207], v[130:131]
	v_mul_f64 v[130:131], v[22:23], v[130:131]
	v_add_f64 v[84:85], v[60:61], v[62:63]
	v_add_f64 v[100:101], v[38:39], v[50:51]
	;; [unrolled: 1-line block ×7, first 2 shown]
	v_fma_f64 v[149:150], v[179:180], v[153:154], v[46:47]
	v_add_f64 v[153:154], v[18:19], v[38:39]
	v_add_f64 v[169:170], v[78:79], v[80:81]
	v_fma_f64 v[102:103], v[34:35], v[96:97], -v[102:103]
	v_fma_f64 v[96:97], v[183:184], v[96:97], v[98:99]
	v_add_f64 v[171:172], v[70:71], v[92:93]
	v_fma_f64 v[90:91], v[32:33], v[108:109], -v[90:91]
	v_fma_f64 v[157:158], v[28:29], v[104:105], -v[157:158]
	;; [unrolled: 1-line block ×6, first 2 shown]
	v_fma_f64 v[108:109], v[181:182], v[108:109], v[110:111]
	v_fma_f64 v[98:99], v[185:186], v[104:105], v[106:107]
	;; [unrolled: 1-line block ×5, first 2 shown]
	v_add_f64 v[120:121], v[8:9], v[42:43]
	v_fma_f64 v[155:156], v[22:23], v[128:129], -v[155:156]
	v_add_f64 v[122:123], v[10:11], v[68:69]
	v_fma_f64 v[114:115], v[206:207], v[128:129], v[130:131]
	v_add_f64 v[128:129], v[88:89], -v[36:37]
	v_add_f64 v[130:131], v[16:17], v[60:61]
	v_fma_f64 v[8:9], v[74:75], -0.5, v[8:9]
	v_add_f64 v[74:75], v[159:160], -v[40:41]
	v_fma_f64 v[10:11], v[82:83], -0.5, v[10:11]
	v_add_f64 v[82:83], v[76:77], -v[72:73]
	;; [unrolled: 2-line block ×3, first 2 shown]
	v_fma_f64 v[18:19], v[100:101], -0.5, v[18:19]
	v_fma_f64 v[110:111], v[202:203], v[124:125], v[126:127]
	v_add_f64 v[100:101], v[70:71], -v[92:93]
	v_fma_f64 v[12:13], v[94:95], -0.5, v[12:13]
	v_add_f64 v[94:95], v[86:87], -v[149:150]
	v_fma_f64 v[14:15], v[151:152], -0.5, v[14:15]
	v_lshlrev_b32_e32 v24, 3, v145
	v_add_f64 v[151:152], v[88:89], v[36:37]
	v_add_f64 v[173:174], v[86:87], v[149:150]
	;; [unrolled: 1-line block ×3, first 2 shown]
	s_delay_alu instid0(VALU_DEP_4)
	v_add3_u32 v145, 0, v191, v24
	ds_load_2addr_b64 v[20:23], v213 offset1:90
	ds_load_2addr_b64 v[24:27], v214 offset0:52 offset1:142
	ds_load_2addr_b64 v[28:31], v223 offset0:104 offset1:194
	;; [unrolled: 1-line block ×4, first 2 shown]
	s_waitcnt lgkmcnt(0)
	s_barrier
	v_add_f64 v[175:176], v[4:5], v[90:91]
	v_add_f64 v[116:117], v[90:91], v[157:158]
	;; [unrolled: 1-line block ×6, first 2 shown]
	buffer_gl0_inv
	v_add_f64 v[185:186], v[108:109], -v[98:99]
	v_add_f64 v[187:188], v[96:97], -v[104:105]
	v_add_f64 v[179:180], v[108:109], v[98:99]
	v_add_f64 v[200:201], v[106:107], -v[112:113]
	v_add_f64 v[126:127], v[58:59], v[155:156]
	v_add_f64 v[88:89], v[20:21], v[88:89]
	;; [unrolled: 1-line block ×3, first 2 shown]
	v_fma_f64 v[24:25], v[167:168], -0.5, v[24:25]
	v_add_f64 v[78:79], v[26:27], v[78:79]
	v_fma_f64 v[26:27], v[169:170], -0.5, v[26:27]
	v_add_f64 v[70:71], v[28:29], v[70:71]
	v_add_f64 v[86:87], v[30:31], v[86:87]
	v_fma_f64 v[28:29], v[171:172], -0.5, v[28:29]
	v_add_f64 v[202:203], v[110:111], -v[114:115]
	v_fma_f64 v[20:21], v[151:152], -0.5, v[20:21]
	v_fma_f64 v[30:31], v[173:174], -0.5, v[30:31]
	;; [unrolled: 1-line block ×4, first 2 shown]
	v_add_f64 v[116:117], v[120:121], v[64:65]
	v_add_f64 v[118:119], v[122:123], v[66:67]
	;; [unrolled: 1-line block ×3, first 2 shown]
	v_fma_f64 v[130:131], v[128:129], s[4:5], v[8:9]
	v_fma_f64 v[8:9], v[128:129], s[2:3], v[8:9]
	;; [unrolled: 1-line block ×6, first 2 shown]
	v_add_f64 v[122:123], v[153:154], v[50:51]
	v_fma_f64 v[82:83], v[84:85], s[2:3], v[18:19]
	v_fma_f64 v[18:19], v[84:85], s[4:5], v[18:19]
	v_fma_f64 v[0:1], v[124:125], -0.5, v[0:1]
	v_fma_f64 v[2:3], v[126:127], -0.5, v[2:3]
	v_add_f64 v[124:125], v[161:162], v[54:55]
	v_add_f64 v[126:127], v[163:164], v[44:45]
	v_fma_f64 v[84:85], v[100:101], s[2:3], v[12:13]
	v_fma_f64 v[12:13], v[100:101], s[4:5], v[12:13]
	;; [unrolled: 1-line block ×4, first 2 shown]
	v_add_f64 v[94:95], v[96:97], v[104:105]
	v_add_f64 v[153:154], v[22:23], v[159:160]
	;; [unrolled: 1-line block ×4, first 2 shown]
	v_fma_f64 v[22:23], v[165:166], -0.5, v[22:23]
	v_add_f64 v[163:164], v[175:176], v[157:158]
	v_add_f64 v[165:166], v[177:178], v[189:190]
	v_add_f64 v[167:168], v[181:182], v[208:209]
	v_fma_f64 v[151:152], v[179:180], -0.5, v[32:33]
	v_add_f64 v[169:170], v[183:184], v[155:156]
	v_add_f64 v[78:79], v[78:79], v[80:81]
	;; [unrolled: 1-line block ×4, first 2 shown]
	ds_store_2addr_b64 v213, v[116:117], v[118:119] offset1:90
	v_fma_f64 v[116:117], v[185:186], s[2:3], v[4:5]
	v_fma_f64 v[118:119], v[187:188], s[2:3], v[6:7]
	;; [unrolled: 1-line block ×4, first 2 shown]
	ds_store_2addr_b64 v217, v[130:131], v[128:129] offset0:88 offset1:178
	ds_store_2addr_b64 v214, v[120:121], v[8:9] offset0:52 offset1:172
	;; [unrolled: 1-line block ×3, first 2 shown]
	ds_store_b64 v213, v[16:17] offset:6240
	ds_store_b64 v145, v[122:123]
	ds_store_b64 v145, v[82:83] offset:2400
	ds_store_b64 v145, v[18:19] offset:4800
	ds_store_2addr_b64 v210, v[124:125], v[126:127] offset0:64 offset1:154
	ds_store_2addr_b64 v218, v[84:85], v[100:101] offset0:108 offset1:198
	;; [unrolled: 1-line block ×3, first 2 shown]
	v_add_f64 v[74:75], v[88:89], v[36:37]
	v_mul_u32_u24_e32 v36, 0x1c20, v142
	v_lshlrev_b32_e32 v37, 3, v143
	v_add_f64 v[14:15], v[42:43], -v[64:65]
	v_add_f64 v[16:17], v[68:69], -v[66:67]
	v_add_f64 v[10:11], v[32:33], v[108:109]
	v_add_f64 v[32:33], v[60:61], -v[62:63]
	v_add3_u32 v120, 0, v36, v37
	v_lshl_add_u32 v121, v146, 3, 0
	v_add_f64 v[36:37], v[38:39], -v[50:51]
	v_lshl_add_u32 v122, v147, 3, 0
	v_fma_f64 v[171:172], v[200:201], s[2:3], v[0:1]
	v_fma_f64 v[8:9], v[94:95], -0.5, v[34:35]
	v_add_f64 v[12:13], v[34:35], v[96:97]
	v_add_f64 v[64:65], v[153:154], v[40:41]
	;; [unrolled: 1-line block ×3, first 2 shown]
	v_fma_f64 v[34:35], v[159:160], -0.5, v[46:47]
	v_fma_f64 v[38:39], v[161:162], -0.5, v[48:49]
	v_add_f64 v[40:41], v[48:49], v[110:111]
	v_add_f64 v[42:43], v[52:53], -v[54:55]
	v_add_f64 v[48:49], v[56:57], -v[44:45]
	ds_store_b64 v120, v[163:164]
	ds_store_b64 v120, v[116:117] offset:2400
	ds_store_b64 v120, v[4:5] offset:4800
	v_add_f64 v[4:5], v[90:91], -v[157:158]
	v_add_f64 v[50:51], v[102:103], -v[189:190]
	;; [unrolled: 1-line block ×3, first 2 shown]
	ds_store_b64 v121, v[165:166] offset:14400
	ds_store_b64 v121, v[118:119] offset:16800
	;; [unrolled: 1-line block ×4, first 2 shown]
	v_add_f64 v[6:7], v[58:59], -v[155:156]
	v_fma_f64 v[0:1], v[200:201], s[4:5], v[0:1]
	v_fma_f64 v[173:174], v[202:203], s[2:3], v[2:3]
	;; [unrolled: 1-line block ×3, first 2 shown]
	v_add_f64 v[68:69], v[76:77], v[72:73]
	v_lshl_add_u32 v123, v148, 3, 0
	ds_store_b64 v122, v[171:172] offset:16800
	ds_store_b64 v122, v[0:1] offset:19200
	;; [unrolled: 1-line block ×5, first 2 shown]
	v_fma_f64 v[60:61], v[14:15], s[2:3], v[20:21]
	v_fma_f64 v[62:63], v[16:17], s[2:3], v[22:23]
	;; [unrolled: 1-line block ×8, first 2 shown]
	s_waitcnt lgkmcnt(0)
	s_barrier
	buffer_gl0_inv
	ds_load_2addr_b64 v[0:3], v213 offset1:90
	ds_load_2addr_b64 v[56:59], v222 offset0:132 offset1:222
	ds_load_2addr_b64 v[44:47], v228 offset0:8 offset1:98
	v_fma_f64 v[88:89], v[42:43], s[4:5], v[28:29]
	v_fma_f64 v[90:91], v[42:43], s[2:3], v[28:29]
	v_fma_f64 v[92:93], v[48:49], s[4:5], v[30:31]
	v_fma_f64 v[94:95], v[48:49], s[2:3], v[30:31]
	v_add_f64 v[96:97], v[10:11], v[98:99]
	v_fma_f64 v[98:99], v[4:5], s[4:5], v[151:152]
	v_fma_f64 v[100:101], v[4:5], s[2:3], v[151:152]
	v_add_f64 v[102:103], v[12:13], v[104:105]
	v_fma_f64 v[104:105], v[50:51], s[4:5], v[8:9]
	v_fma_f64 v[106:107], v[50:51], s[2:3], v[8:9]
	;; [unrolled: 3-line block ×4, first 2 shown]
	ds_load_2addr_b64 v[12:15], v214 offset0:52 offset1:142
	ds_load_2addr_b64 v[20:23], v229 offset0:56 offset1:146
	;; [unrolled: 1-line block ×12, first 2 shown]
	s_waitcnt lgkmcnt(0)
	s_barrier
	buffer_gl0_inv
	ds_store_2addr_b64 v213, v[74:75], v[64:65] offset1:90
	ds_store_2addr_b64 v217, v[60:61], v[62:63] offset0:88 offset1:178
	ds_store_2addr_b64 v214, v[68:69], v[66:67] offset0:52 offset1:172
	;; [unrolled: 1-line block ×3, first 2 shown]
	ds_store_b64 v213, v[82:83] offset:6240
	ds_store_b64 v145, v[78:79]
	ds_store_b64 v145, v[80:81] offset:2400
	ds_store_b64 v145, v[84:85] offset:4800
	ds_store_2addr_b64 v210, v[70:71], v[86:87] offset0:64 offset1:154
	ds_store_2addr_b64 v218, v[88:89], v[92:93] offset0:108 offset1:198
	;; [unrolled: 1-line block ×3, first 2 shown]
	ds_store_b64 v120, v[96:97]
	ds_store_b64 v120, v[98:99] offset:2400
	ds_store_b64 v120, v[100:101] offset:4800
	;; [unrolled: 1-line block ×11, first 2 shown]
	s_waitcnt lgkmcnt(0)
	s_barrier
	buffer_gl0_inv
	s_and_saveexec_b32 s0, vcc_lo
	s_cbranch_execz .LBB0_15
; %bb.14:
	v_dual_mov_b32 v61, v199 :: v_dual_lshlrev_b32 v60, 1, v144
	v_dual_mov_b32 v63, v199 :: v_dual_lshlrev_b32 v62, 1, v139
	v_dual_mov_b32 v81, v199 :: v_dual_lshlrev_b32 v80, 1, v137
	s_delay_alu instid0(VALU_DEP_3) | instskip(SKIP_1) | instid1(VALU_DEP_4)
	v_lshlrev_b64 v[60:61], 4, v[60:61]
	v_mul_lo_u32 v211, s10, v193
	v_lshlrev_b64 v[68:69], 4, v[62:63]
	v_mad_u64_u32 v[204:205], null, s10, v192, 0
	v_lshlrev_b64 v[80:81], 4, v[80:81]
	v_add_co_u32 v64, vcc_lo, s8, v60
	v_add_co_ci_u32_e32 v65, vcc_lo, s9, v61, vcc_lo
	v_mov_b32_e32 v208, v199
	s_delay_alu instid0(VALU_DEP_3) | instskip(NEXT) | instid1(VALU_DEP_3)
	v_add_co_u32 v60, vcc_lo, 0x3810, v64
	v_add_co_ci_u32_e32 v61, vcc_lo, 0, v65, vcc_lo
	v_add_co_u32 v64, vcc_lo, 0x3000, v64
	v_add_co_ci_u32_e32 v65, vcc_lo, 0, v65, vcc_lo
	;; [unrolled: 2-line block ×4, first 2 shown]
	v_dual_mov_b32 v69, v199 :: v_dual_lshlrev_b32 v68, 1, v138
	v_add_co_u32 v72, vcc_lo, 0x3000, v132
	v_add_co_ci_u32_e32 v73, vcc_lo, 0, v133, vcc_lo
	v_add_co_u32 v74, vcc_lo, 0x3810, v76
	s_delay_alu instid0(VALU_DEP_4) | instskip(SKIP_3) | instid1(VALU_DEP_4)
	v_lshlrev_b64 v[68:69], 4, v[68:69]
	v_add_co_ci_u32_e32 v75, vcc_lo, 0, v77, vcc_lo
	v_add_co_u32 v76, vcc_lo, 0x3000, v76
	v_add_co_ci_u32_e32 v77, vcc_lo, 0, v77, vcc_lo
	v_add_co_u32 v82, vcc_lo, s8, v68
	;; [unrolled: 2-line block ×3, first 2 shown]
	v_add_co_ci_u32_e32 v69, vcc_lo, 0, v136, vcc_lo
	s_delay_alu instid0(VALU_DEP_4) | instskip(NEXT) | instid1(VALU_DEP_4)
	v_add_co_u32 v78, vcc_lo, 0x3810, v82
	v_add_co_ci_u32_e32 v79, vcc_lo, 0, v83, vcc_lo
	s_clause 0x3
	global_load_b128 v[64:67], v[64:65], off offset:2064
	global_load_b128 v[60:63], v[60:61], off offset:16
	;; [unrolled: 1-line block ×4, first 2 shown]
	v_add_co_u32 v68, vcc_lo, 0x3810, v132
	v_add_co_ci_u32_e32 v69, vcc_lo, 0, v133, vcc_lo
	v_add_co_u32 v70, vcc_lo, 0x3000, v82
	v_add_co_ci_u32_e32 v71, vcc_lo, 0, v83, vcc_lo
	s_clause 0x5
	global_load_b128 v[92:95], v[76:77], off offset:2064
	global_load_b128 v[88:91], v[74:75], off offset:16
	;; [unrolled: 1-line block ×6, first 2 shown]
	v_add_co_u32 v74, vcc_lo, s8, v80
	v_add_co_ci_u32_e32 v75, vcc_lo, s9, v81, vcc_lo
	v_dual_mov_b32 v69, v199 :: v_dual_add_nc_u32 v68, 0x384, v198
	s_delay_alu instid0(VALU_DEP_3) | instskip(NEXT) | instid1(VALU_DEP_3)
	v_add_co_u32 v70, vcc_lo, 0x3810, v74
	v_add_co_ci_u32_e32 v71, vcc_lo, 0, v75, vcc_lo
	s_delay_alu instid0(VALU_DEP_3)
	v_lshlrev_b64 v[68:69], 4, v[68:69]
	v_add_co_u32 v72, vcc_lo, 0x3000, v140
	v_add_co_ci_u32_e32 v73, vcc_lo, 0, v141, vcc_lo
	v_add_co_u32 v74, vcc_lo, 0x3000, v74
	v_add_co_ci_u32_e32 v75, vcc_lo, 0, v75, vcc_lo
	;; [unrolled: 2-line block ×4, first 2 shown]
	global_load_b128 v[148:151], v[72:73], off offset:2064
	v_dual_mov_b32 v207, v199 :: v_dual_add_nc_u32 v198, 0x2d0, v198
	global_load_b128 v[140:143], v[68:69], off offset:16
	v_add_co_u32 v72, vcc_lo, 0x3000, v76
	v_add_co_ci_u32_e32 v73, vcc_lo, 0, v77, vcc_lo
	v_add_co_u32 v68, vcc_lo, 0x3810, v76
	v_add_co_ci_u32_e32 v69, vcc_lo, 0, v77, vcc_lo
	v_lshlrev_b64 v[76:77], 4, v[198:199]
	v_dual_mov_b32 v209, v199 :: v_dual_lshlrev_b32 v198, 1, v134
	s_clause 0x3
	global_load_b128 v[112:115], v[74:75], off offset:2064
	global_load_b128 v[116:119], v[70:71], off offset:16
	;; [unrolled: 1-line block ×4, first 2 shown]
	v_dual_mov_b32 v206, v199 :: v_dual_add_nc_u32 v215, 0xb4, v212
	v_add_co_u32 v72, vcc_lo, s8, v76
	v_add_co_ci_u32_e32 v73, vcc_lo, s9, v77, vcc_lo
	v_lshlrev_b64 v[68:69], 4, v[198:199]
	s_delay_alu instid0(VALU_DEP_3) | instskip(NEXT) | instid1(VALU_DEP_3)
	v_add_co_u32 v70, vcc_lo, 0x3810, v72
	v_add_co_ci_u32_e32 v71, vcc_lo, 0, v73, vcc_lo
	v_mul_lo_u32 v198, s11, v192
	s_delay_alu instid0(VALU_DEP_4) | instskip(SKIP_3) | instid1(VALU_DEP_4)
	v_add_co_u32 v74, vcc_lo, s8, v68
	v_add_co_ci_u32_e32 v75, vcc_lo, s9, v69, vcc_lo
	v_add_co_u32 v68, vcc_lo, 0x3000, v72
	v_add_co_ci_u32_e32 v69, vcc_lo, 0, v73, vcc_lo
	v_add_co_u32 v72, vcc_lo, 0x3000, v74
	s_delay_alu instid0(VALU_DEP_4)
	v_add_co_ci_u32_e32 v73, vcc_lo, 0, v75, vcc_lo
	global_load_b128 v[124:127], v[68:69], off offset:2064
	v_add_co_u32 v68, vcc_lo, 0x3810, v74
	v_add_co_ci_u32_e32 v69, vcc_lo, 0, v75, vcc_lo
	s_clause 0x2
	global_load_b128 v[120:123], v[70:71], off offset:16
	global_load_b128 v[128:131], v[72:73], off offset:2064
	;; [unrolled: 1-line block ×3, first 2 shown]
	ds_load_2addr_b64 v[188:191], v221 offset0:84 offset1:174
	ds_load_2addr_b64 v[184:187], v227 offset0:88 offset1:178
	;; [unrolled: 1-line block ×14, first 2 shown]
	ds_load_2addr_b64 v[84:87], v213 offset1:90
	v_mul_hi_u32 v213, 0x91a2b3c5, v212
	v_add_nc_u32_e32 v214, 0x5a, v212
	v_add_nc_u32_e32 v217, 0x168, v212
	;; [unrolled: 1-line block ×3, first 2 shown]
	v_add3_u32 v205, v205, v211, v198
	v_mul_hi_u32 v220, 0x91a2b3c5, v215
	v_mul_hi_u32 v219, 0x91a2b3c5, v214
	;; [unrolled: 1-line block ×3, first 2 shown]
	v_lshrrev_b32_e32 v213, 9, v213
	v_mul_hi_u32 v221, 0x91a2b3c5, v216
	v_lshlrev_b64 v[204:205], 4, v[204:205]
	v_lshlrev_b64 v[196:197], 4, v[196:197]
	v_add_nc_u32_e32 v218, 0x1c2, v212
	v_mul_u32_u24_e32 v213, 0x384, v213
	v_lshrrev_b32_e32 v219, 9, v219
	v_lshrrev_b32_e32 v235, 9, v198
	;; [unrolled: 1-line block ×4, first 2 shown]
	v_sub_nc_u32_e32 v198, v212, v213
	v_mul_u32_u24_e32 v213, 0x384, v219
	v_dual_mov_b32 v210, v199 :: v_dual_add_nc_u32 v249, 0x21c, v212
	v_add_co_u32 v204, vcc_lo, s6, v204
	s_delay_alu instid0(VALU_DEP_3)
	v_sub_nc_u32_e32 v213, v214, v213
	v_mul_u32_u24_e32 v220, 0x384, v223
	v_mul_u32_u24_e32 v221, 0x384, v225
	v_add_co_ci_u32_e32 v205, vcc_lo, s7, v205, vcc_lo
	v_lshlrev_b32_e32 v214, 4, v198
	v_mad_u32_u24 v198, 0xa8c, v219, v213
	v_mul_hi_u32 v211, 0x91a2b3c5, v218
	v_mul_hi_u32 v222, 0x91a2b3c5, v249
	v_add_co_u32 v196, vcc_lo, v204, v196
	v_sub_nc_u32_e32 v226, v215, v220
	v_sub_nc_u32_e32 v227, v216, v221
	v_add_co_ci_u32_e32 v197, vcc_lo, v205, v197, vcc_lo
	v_lshlrev_b64 v[215:216], 4, v[198:199]
	v_add_nc_u32_e32 v205, 0x384, v198
	v_add_nc_u32_e32 v198, 0x708, v198
	v_lshrrev_b32_e32 v211, 9, v211
	v_lshrrev_b32_e32 v250, 9, v222
	v_mul_u32_u24_e32 v222, 0x384, v235
	v_lshlrev_b64 v[204:205], 4, v[205:206]
	v_lshlrev_b64 v[219:220], 4, v[198:199]
	v_mad_u32_u24 v198, 0xa8c, v223, v226
	v_mul_u32_u24_e32 v224, 0x384, v211
	v_sub_nc_u32_e32 v236, v217, v222
	v_add_co_u32 v213, vcc_lo, v196, v214
	s_delay_alu instid0(VALU_DEP_4)
	v_lshlrev_b64 v[221:222], 4, v[198:199]
	v_add_nc_u32_e32 v206, 0x384, v198
	v_add_nc_u32_e32 v198, 0x708, v198
	v_sub_nc_u32_e32 v245, v218, v224
	v_add_co_ci_u32_e32 v214, vcc_lo, 0, v197, vcc_lo
	v_add_co_u32 v217, vcc_lo, 0x3000, v213
	s_delay_alu instid0(VALU_DEP_4) | instskip(SKIP_4) | instid1(VALU_DEP_4)
	v_lshlrev_b64 v[223:224], 4, v[198:199]
	v_mad_u32_u24 v198, 0xa8c, v225, v227
	v_lshlrev_b64 v[225:226], 4, v[206:207]
	v_add_co_ci_u32_e32 v218, vcc_lo, 0, v214, vcc_lo
	v_add_co_u32 v215, vcc_lo, v196, v215
	v_lshlrev_b64 v[227:228], 4, v[198:199]
	v_add_nc_u32_e32 v207, 0x384, v198
	v_add_nc_u32_e32 v198, 0x708, v198
	v_add_co_ci_u32_e32 v216, vcc_lo, v197, v216, vcc_lo
	v_add_co_u32 v204, vcc_lo, v196, v204
	s_delay_alu instid0(VALU_DEP_3) | instskip(SKIP_4) | instid1(VALU_DEP_4)
	v_lshlrev_b64 v[233:234], 4, v[198:199]
	v_mad_u32_u24 v198, 0xa8c, v235, v236
	v_lshlrev_b64 v[206:207], 4, v[207:208]
	v_add_co_ci_u32_e32 v205, vcc_lo, v197, v205, vcc_lo
	v_add_co_u32 v219, vcc_lo, v196, v219
	v_lshlrev_b64 v[237:238], 4, v[198:199]
	v_add_nc_u32_e32 v208, 0x384, v198
	v_add_nc_u32_e32 v198, 0x708, v198
	v_add_co_ci_u32_e32 v220, vcc_lo, v197, v220, vcc_lo
	v_add_co_u32 v221, vcc_lo, v196, v221
	s_delay_alu instid0(VALU_DEP_3)
	v_lshlrev_b64 v[243:244], 4, v[198:199]
	v_mad_u32_u24 v198, 0xa8c, v211, v245
	v_add_co_ci_u32_e32 v222, vcc_lo, v197, v222, vcc_lo
	v_add_co_u32 v225, vcc_lo, v196, v225
	v_add_co_ci_u32_e32 v226, vcc_lo, v197, v226, vcc_lo
	v_add_co_u32 v223, vcc_lo, v196, v223
	;; [unrolled: 2-line block ×6, first 2 shown]
	v_lshlrev_b64 v[247:248], 4, v[208:209]
	v_add_co_ci_u32_e32 v238, vcc_lo, v197, v238, vcc_lo
	v_add_nc_u32_e32 v209, 0x384, v198
	s_waitcnt vmcnt(17) lgkmcnt(2)
	v_mul_f64 v[229:230], v[154:155], v[202:203]
	v_mul_f64 v[202:203], v[152:153], v[202:203]
	s_waitcnt vmcnt(16) lgkmcnt(1)
	v_mul_f64 v[235:236], v[138:139], v[194:195]
	v_mul_f64 v[194:195], v[136:137], v[194:195]
	s_waitcnt vmcnt(13)
	v_mul_f64 v[231:232], v[158:159], v[200:201]
	v_mul_f64 v[200:201], v[156:157], v[200:201]
	s_waitcnt vmcnt(12)
	;; [unrolled: 3-line block ×3, first 2 shown]
	v_mul_f64 v[241:242], v[150:151], v[164:165]
	v_mul_f64 v[164:165], v[148:149], v[164:165]
	v_fma_f64 v[152:153], v[58:59], v[152:153], -v[229:230]
	s_waitcnt vmcnt(8)
	v_mul_f64 v[245:246], v[142:143], v[160:161]
	v_fma_f64 v[58:59], v[58:59], v[154:155], v[202:203]
	v_mul_f64 v[154:155], v[140:141], v[160:161]
	v_mul_f64 v[202:203], v[90:91], v[184:185]
	v_fma_f64 v[156:157], v[56:57], v[156:157], -v[231:232]
	v_fma_f64 v[56:57], v[56:57], v[158:159], v[200:201]
	v_mul_f64 v[200:201], v[62:63], v[186:187]
	v_mul_f64 v[186:187], v[60:61], v[186:187]
	;; [unrolled: 1-line block ×4, first 2 shown]
	v_fma_f64 v[136:137], v[46:47], v[136:137], -v[235:236]
	v_fma_f64 v[46:47], v[46:47], v[138:139], v[194:195]
	v_mul_f64 v[138:139], v[102:103], v[182:183]
	v_mul_f64 v[178:179], v[96:97], v[178:179]
	v_fma_f64 v[144:145], v[44:45], v[144:145], -v[239:240]
	v_fma_f64 v[44:45], v[44:45], v[146:147], v[192:193]
	v_mul_f64 v[146:147], v[100:101], v[182:183]
	s_waitcnt vmcnt(5)
	v_mul_f64 v[194:195], v[106:107], v[174:175]
	s_waitcnt vmcnt(4)
	v_mul_f64 v[231:232], v[110:111], v[170:171]
	v_mul_f64 v[174:175], v[104:105], v[174:175]
	;; [unrolled: 1-line block ×10, first 2 shown]
	v_fma_f64 v[148:149], v[20:21], v[148:149], -v[241:242]
	v_fma_f64 v[20:21], v[20:21], v[150:151], v[164:165]
	v_mul_f64 v[150:151], v[108:109], v[170:171]
	s_waitcnt vmcnt(3)
	v_mul_f64 v[164:165], v[126:127], v[172:173]
	v_mul_f64 v[170:171], v[124:125], v[172:173]
	v_fma_f64 v[140:141], v[24:25], v[140:141], -v[245:246]
	s_waitcnt vmcnt(2)
	v_mul_f64 v[172:173], v[122:123], v[168:169]
	v_mul_f64 v[168:169], v[120:121], v[168:169]
	s_waitcnt vmcnt(1)
	v_mul_f64 v[235:236], v[130:131], v[166:167]
	v_mul_f64 v[166:167], v[128:129], v[166:167]
	s_waitcnt vmcnt(0)
	v_mul_f64 v[239:240], v[132:133], v[162:163]
	v_mul_f64 v[162:163], v[134:135], v[162:163]
	v_fma_f64 v[24:25], v[24:25], v[142:143], v[154:155]
	v_fma_f64 v[60:61], v[50:51], v[60:61], -v[200:201]
	v_fma_f64 v[50:51], v[50:51], v[62:63], v[186:187]
	v_fma_f64 v[62:63], v[48:49], v[88:89], -v[202:203]
	;; [unrolled: 2-line block ×3, first 2 shown]
	v_fma_f64 v[90:91], v[42:43], v[100:101], -v[138:139]
	v_fma_f64 v[38:39], v[38:39], v[98:99], v[178:179]
	v_fma_f64 v[42:43], v[42:43], v[102:103], v[146:147]
	v_fma_f64 v[96:97], v[34:35], v[104:105], -v[194:195]
	v_fma_f64 v[98:99], v[30:31], v[108:109], -v[231:232]
	v_fma_f64 v[34:35], v[34:35], v[106:107], v[174:175]
	v_fma_f64 v[64:65], v[54:55], v[64:65], -v[160:161]
	v_fma_f64 v[54:55], v[54:55], v[66:67], v[158:159]
	;; [unrolled: 2-line block ×3, first 2 shown]
	v_fma_f64 v[92:93], v[36:37], v[112:113], -v[182:183]
	v_fma_f64 v[94:95], v[40:41], v[116:117], -v[192:193]
	v_fma_f64 v[36:37], v[36:37], v[114:115], v[176:177]
	v_fma_f64 v[40:41], v[40:41], v[118:119], v[180:181]
	v_add_f64 v[118:119], v[152:153], -v[136:137]
	v_add_f64 v[138:139], v[0:1], v[156:157]
	v_add_co_u32 v241, vcc_lo, 0x7000, v213
	v_add_co_ci_u32_e32 v242, vcc_lo, 0, v214, vcc_lo
	v_add_co_u32 v154, vcc_lo, v196, v247
	v_fma_f64 v[100:101], v[30:31], v[110:111], v[150:151]
	v_fma_f64 v[30:31], v[32:33], v[124:125], -v[164:165]
	v_fma_f64 v[32:33], v[32:33], v[126:127], v[170:171]
	v_add_f64 v[124:125], v[152:153], v[136:137]
	v_fma_f64 v[110:111], v[28:29], v[120:121], -v[172:173]
	v_fma_f64 v[102:103], v[28:29], v[122:123], v[168:169]
	v_add_f64 v[120:121], v[58:59], v[46:47]
	v_fma_f64 v[104:105], v[22:23], v[130:131], v[166:167]
	v_fma_f64 v[106:107], v[26:27], v[134:135], v[239:240]
	v_fma_f64 v[22:23], v[22:23], v[128:129], -v[235:236]
	v_fma_f64 v[108:109], v[26:27], v[132:133], -v[162:163]
	v_add_f64 v[130:131], v[56:57], v[44:45]
	v_add_f64 v[134:135], v[156:157], v[144:145]
	;; [unrolled: 1-line block ×3, first 2 shown]
	s_waitcnt lgkmcnt(0)
	v_add_f64 v[122:123], v[58:59], v[86:87]
	v_add_f64 v[114:115], v[148:149], v[140:141]
	v_add_f64 v[112:113], v[148:149], -v[140:141]
	v_add_f64 v[28:29], v[20:21], v[80:81]
	v_add_f64 v[116:117], v[20:21], -v[24:25]
	;; [unrolled: 2-line block ×4, first 2 shown]
	v_add_f64 v[146:147], v[64:65], -v[60:61]
	v_add_f64 v[148:149], v[54:55], v[50:51]
	v_add_f64 v[150:151], v[54:55], v[78:79]
	v_add_f64 v[152:153], v[64:65], v[60:61]
	v_add_f64 v[156:157], v[54:55], -v[50:51]
	v_add_f64 v[54:55], v[18:19], v[64:65]
	v_add_f64 v[158:159], v[66:67], -v[62:63]
	v_add_f64 v[64:65], v[52:53], v[48:49]
	v_add_f64 v[160:161], v[52:53], v[76:77]
	v_add_f64 v[162:163], v[66:67], v[62:63]
	v_add_f64 v[164:165], v[52:53], -v[48:49]
	v_add_f64 v[52:53], v[16:17], v[66:67]
	;; [unrolled: 6-line block ×3, first 2 shown]
	v_add_f64 v[182:183], v[36:37], v[40:41]
	v_add_f64 v[88:89], v[30:31], v[110:111]
	;; [unrolled: 1-line block ×4, first 2 shown]
	v_add_f64 v[188:189], v[36:37], -v[40:41]
	v_add_f64 v[172:173], v[104:105], v[106:107]
	v_add_f64 v[36:37], v[34:35], v[100:101]
	;; [unrolled: 1-line block ×5, first 2 shown]
	v_add_f64 v[56:57], v[56:57], -v[44:45]
	v_add_f64 v[186:187], v[92:93], v[94:95]
	v_fma_f64 v[86:87], v[120:121], -0.5, v[86:87]
	v_fma_f64 v[84:85], v[130:131], -0.5, v[84:85]
	;; [unrolled: 1-line block ×4, first 2 shown]
	v_add_f64 v[26:27], v[46:47], v[122:123]
	v_fma_f64 v[122:123], v[124:125], -0.5, v[2:3]
	v_fma_f64 v[114:115], v[114:115], -0.5, v[12:13]
	v_add_f64 v[192:193], v[34:35], v[70:71]
	v_add_f64 v[200:201], v[34:35], -v[100:101]
	v_add_f64 v[34:35], v[32:33], v[68:69]
	v_add_f64 v[231:232], v[32:33], -v[102:103]
	v_add_f64 v[32:33], v[104:105], v[82:83]
	v_add_f64 v[235:236], v[14:15], v[22:23]
	v_add_f64 v[239:240], v[22:23], -v[108:109]
	v_add_f64 v[104:105], v[104:105], -v[106:107]
	v_add_f64 v[202:203], v[4:5], v[30:31]
	v_add_f64 v[229:230], v[30:31], -v[110:111]
	v_fma_f64 v[130:131], v[148:149], -0.5, v[78:79]
	v_add_f64 v[190:191], v[96:97], -v[98:99]
	v_add_f64 v[96:97], v[6:7], v[96:97]
	v_add_f64 v[180:181], v[92:93], -v[94:95]
	v_add_f64 v[92:93], v[8:9], v[92:93]
	v_add_f64 v[0:1], v[138:139], v[144:145]
	;; [unrolled: 1-line block ×4, first 2 shown]
	v_fma_f64 v[134:135], v[162:163], -0.5, v[16:17]
	v_add_f64 v[16:17], v[52:53], v[62:63]
	v_fma_f64 v[78:79], v[88:89], -0.5, v[4:5]
	v_fma_f64 v[124:125], v[170:171], -0.5, v[68:69]
	;; [unrolled: 1-line block ×7, first 2 shown]
	v_add_f64 v[14:15], v[50:51], v[150:151]
	v_fma_f64 v[150:151], v[194:195], -0.5, v[6:7]
	v_add_f64 v[2:3], v[44:45], v[132:133]
	v_fma_f64 v[144:145], v[186:187], -0.5, v[8:9]
	v_add_f64 v[18:19], v[48:49], v[160:161]
	v_fma_f64 v[54:55], v[128:129], s[4:5], v[84:85]
	v_fma_f64 v[52:53], v[56:57], s[2:3], v[120:121]
	;; [unrolled: 1-line block ×4, first 2 shown]
	v_add_f64 v[22:23], v[24:25], v[28:29]
	v_add_f64 v[24:25], v[58:59], v[136:137]
	v_fma_f64 v[58:59], v[118:119], s[4:5], v[86:87]
	v_fma_f64 v[56:57], v[126:127], s[2:3], v[122:123]
	v_fma_f64 v[46:47], v[118:119], s[2:3], v[86:87]
	v_fma_f64 v[44:45], v[126:127], s[4:5], v[122:123]
	v_add_f64 v[30:31], v[42:43], v[168:169]
	v_fma_f64 v[138:139], v[174:175], -0.5, v[10:11]
	v_add_f64 v[10:11], v[40:41], v[184:185]
	v_fma_f64 v[42:43], v[112:113], s[4:5], v[80:81]
	v_fma_f64 v[40:41], v[116:117], s[2:3], v[114:115]
	v_add_f64 v[28:29], v[38:39], v[90:91]
	v_fma_f64 v[38:39], v[112:113], s[2:3], v[80:81]
	v_fma_f64 v[36:37], v[116:117], s[4:5], v[114:115]
	v_add_f64 v[6:7], v[102:103], v[34:35]
	v_add_f64 v[34:35], v[106:107], v[32:33]
	;; [unrolled: 1-line block ×3, first 2 shown]
	v_fma_f64 v[136:137], v[66:67], -0.5, v[74:75]
	v_fma_f64 v[132:133], v[64:65], -0.5, v[76:77]
	v_add_f64 v[4:5], v[202:203], v[110:111]
	v_add_f64 v[76:77], v[96:97], v[98:99]
	v_add_co_ci_u32_e32 v155, vcc_lo, v197, v248, vcc_lo
	v_fma_f64 v[74:75], v[229:230], s[4:5], v[124:125]
	v_fma_f64 v[72:73], v[231:232], s[2:3], v[78:79]
	;; [unrolled: 1-line block ×8, first 2 shown]
	v_add_f64 v[78:79], v[100:101], v[192:193]
	v_fma_f64 v[118:119], v[190:191], s[4:5], v[148:149]
	v_fma_f64 v[116:117], v[200:201], s[2:3], v[150:151]
	v_fma_f64 v[114:115], v[190:191], s[2:3], v[148:149]
	v_fma_f64 v[112:113], v[200:201], s[4:5], v[150:151]
	v_add_co_u32 v243, vcc_lo, v196, v243
	v_add_co_ci_u32_e32 v244, vcc_lo, v197, v244, vcc_lo
	v_add_f64 v[8:9], v[92:93], v[94:95]
	s_clause 0xe
	global_store_b128 v[213:214], v[0:3], off
	global_store_b128 v[217:218], v[52:55], off offset:2112
	global_store_b128 v[241:242], v[48:51], off offset:128
	global_store_b128 v[215:216], v[24:27], off
	global_store_b128 v[204:205], v[56:59], off
	;; [unrolled: 1-line block ×12, first 2 shown]
	v_mul_u32_u24_e32 v6, 0x384, v250
	v_fma_f64 v[110:111], v[180:181], s[4:5], v[140:141]
	v_fma_f64 v[108:109], v[188:189], s[2:3], v[144:145]
	v_add_nc_u32_e32 v20, 0x276, v212
	v_lshlrev_b64 v[142:143], 4, v[198:199]
	v_add_nc_u32_e32 v198, 0x708, v198
	v_sub_nc_u32_e32 v6, v249, v6
	v_lshlrev_b64 v[0:1], 4, v[209:210]
	v_mul_hi_u32 v21, 0x91a2b3c5, v20
	v_fma_f64 v[106:107], v[180:181], s[2:3], v[140:141]
	v_lshlrev_b64 v[4:5], 4, v[198:199]
	v_mad_u32_u24 v198, 0xa8c, v250, v6
	v_add_co_u32 v2, vcc_lo, v196, v142
	v_add_co_ci_u32_e32 v3, vcc_lo, v197, v143, vcc_lo
	v_add_co_u32 v0, vcc_lo, v196, v0
	v_fma_f64 v[104:105], v[188:189], s[4:5], v[144:145]
	v_dual_mov_b32 v7, v199 :: v_dual_add_nc_u32 v6, 0x384, v198
	v_lshrrev_b32_e32 v21, 9, v21
	v_add_co_ci_u32_e32 v1, vcc_lo, v197, v1, vcc_lo
	s_clause 0x1
	global_store_b128 v[2:3], v[76:79], off
	global_store_b128 v[0:1], v[116:119], off
	v_lshlrev_b64 v[2:3], 4, v[6:7]
	v_mul_u32_u24_e32 v6, 0x384, v21
	v_add_co_u32 v4, vcc_lo, v196, v4
	v_lshlrev_b64 v[0:1], 4, v[198:199]
	v_add_co_ci_u32_e32 v5, vcc_lo, v197, v5, vcc_lo
	v_add_nc_u32_e32 v198, 0x708, v198
	v_sub_nc_u32_e32 v6, v20, v6
	v_add_nc_u32_e32 v20, 0x2d0, v212
	v_fma_f64 v[102:103], v[166:167], s[4:5], v[136:137]
	v_fma_f64 v[100:101], v[178:179], s[2:3], v[138:139]
	v_add_co_u32 v0, vcc_lo, v196, v0
	v_fma_f64 v[98:99], v[166:167], s[2:3], v[136:137]
	v_fma_f64 v[96:97], v[178:179], s[4:5], v[138:139]
	global_store_b128 v[4:5], v[112:115], off
	v_lshlrev_b64 v[4:5], 4, v[198:199]
	v_mad_u32_u24 v198, 0xa8c, v21, v6
	v_mul_hi_u32 v21, 0x91a2b3c5, v20
	v_add_co_ci_u32_e32 v1, vcc_lo, v197, v1, vcc_lo
	v_add_co_u32 v2, vcc_lo, v196, v2
	v_add_co_ci_u32_e32 v3, vcc_lo, v197, v3, vcc_lo
	v_add_nc_u32_e32 v6, 0x384, v198
	s_clause 0x1
	global_store_b128 v[0:1], v[8:11], off
	global_store_b128 v[2:3], v[108:111], off
	v_lshrrev_b32_e32 v8, 9, v21
	v_add_nc_u32_e32 v9, 0x32a, v212
	v_lshlrev_b64 v[2:3], 4, v[6:7]
	v_add_co_u32 v4, vcc_lo, v196, v4
	s_delay_alu instid0(VALU_DEP_4) | instskip(NEXT) | instid1(VALU_DEP_4)
	v_mul_u32_u24_e32 v6, 0x384, v8
	v_mul_hi_u32 v7, 0x91a2b3c5, v9
	v_add_co_ci_u32_e32 v5, vcc_lo, v197, v5, vcc_lo
	v_lshlrev_b64 v[0:1], 4, v[198:199]
	v_add_nc_u32_e32 v198, 0x708, v198
	v_sub_nc_u32_e32 v6, v20, v6
	v_fma_f64 v[94:95], v[158:159], s[4:5], v[132:133]
	v_fma_f64 v[92:93], v[164:165], s[2:3], v[134:135]
	;; [unrolled: 1-line block ×6, first 2 shown]
	global_store_b128 v[4:5], v[104:107], off
	v_lshlrev_b64 v[4:5], 4, v[198:199]
	v_mad_u32_u24 v198, 0xa8c, v8, v6
	v_lshrrev_b32_e32 v8, 9, v7
	v_add_co_u32 v0, vcc_lo, v196, v0
	v_fma_f64 v[86:87], v[146:147], s[4:5], v[130:131]
	v_fma_f64 v[82:83], v[146:147], s[2:3], v[130:131]
	v_add_co_ci_u32_e32 v1, vcc_lo, v197, v1, vcc_lo
	v_add_co_u32 v2, vcc_lo, v196, v2
	v_dual_mov_b32 v7, v199 :: v_dual_add_nc_u32 v6, 0x384, v198
	v_mul_u32_u24_e32 v10, 0x384, v8
	v_add_co_ci_u32_e32 v3, vcc_lo, v197, v3, vcc_lo
	v_add_co_u32 v4, vcc_lo, v196, v4
	v_add_co_ci_u32_e32 v5, vcc_lo, v197, v5, vcc_lo
	s_clause 0x1
	global_store_b128 v[0:1], v[28:31], off
	global_store_b128 v[2:3], v[100:103], off
	v_lshlrev_b64 v[0:1], 4, v[198:199]
	v_lshlrev_b64 v[2:3], 4, v[6:7]
	v_add_nc_u32_e32 v198, 0x708, v198
	v_sub_nc_u32_e32 v6, v9, v10
	global_store_b128 v[4:5], v[96:99], off
	v_mov_b32_e32 v9, v199
	v_add_co_u32 v0, vcc_lo, v196, v0
	v_lshlrev_b64 v[4:5], 4, v[198:199]
	v_mad_u32_u24 v198, 0xa8c, v8, v6
	v_add_co_ci_u32_e32 v1, vcc_lo, v197, v1, vcc_lo
	v_add_co_u32 v2, vcc_lo, v196, v2
	s_delay_alu instid0(VALU_DEP_3)
	v_add_nc_u32_e32 v8, 0x384, v198
	v_lshlrev_b64 v[6:7], 4, v[198:199]
	v_add_nc_u32_e32 v198, 0x708, v198
	v_add_co_ci_u32_e32 v3, vcc_lo, v197, v3, vcc_lo
	v_add_co_u32 v4, vcc_lo, v196, v4
	v_lshlrev_b64 v[8:9], 4, v[8:9]
	v_add_co_ci_u32_e32 v5, vcc_lo, v197, v5, vcc_lo
	v_add_co_u32 v6, vcc_lo, v196, v6
	v_lshlrev_b64 v[10:11], 4, v[198:199]
	v_add_co_ci_u32_e32 v7, vcc_lo, v197, v7, vcc_lo
	v_add_co_u32 v8, vcc_lo, v196, v8
	v_add_co_ci_u32_e32 v9, vcc_lo, v197, v9, vcc_lo
	s_delay_alu instid0(VALU_DEP_4)
	v_add_co_u32 v10, vcc_lo, v196, v10
	v_add_co_ci_u32_e32 v11, vcc_lo, v197, v11, vcc_lo
	s_clause 0x5
	global_store_b128 v[0:1], v[16:19], off
	global_store_b128 v[2:3], v[92:95], off
	;; [unrolled: 1-line block ×6, first 2 shown]
.LBB0_15:
	s_nop 0
	s_sendmsg sendmsg(MSG_DEALLOC_VGPRS)
	s_endpgm
	.section	.rodata,"a",@progbits
	.p2align	6, 0x0
	.amdhsa_kernel fft_rtc_fwd_len2700_factors_3_10_10_3_3_wgs_90_tpt_90_halfLds_dp_op_CI_CI_unitstride_sbrr_dirReg
		.amdhsa_group_segment_fixed_size 0
		.amdhsa_private_segment_fixed_size 0
		.amdhsa_kernarg_size 104
		.amdhsa_user_sgpr_count 15
		.amdhsa_user_sgpr_dispatch_ptr 0
		.amdhsa_user_sgpr_queue_ptr 0
		.amdhsa_user_sgpr_kernarg_segment_ptr 1
		.amdhsa_user_sgpr_dispatch_id 0
		.amdhsa_user_sgpr_private_segment_size 0
		.amdhsa_wavefront_size32 1
		.amdhsa_uses_dynamic_stack 0
		.amdhsa_enable_private_segment 0
		.amdhsa_system_sgpr_workgroup_id_x 1
		.amdhsa_system_sgpr_workgroup_id_y 0
		.amdhsa_system_sgpr_workgroup_id_z 0
		.amdhsa_system_sgpr_workgroup_info 0
		.amdhsa_system_vgpr_workitem_id 0
		.amdhsa_next_free_vgpr 256
		.amdhsa_next_free_sgpr 27
		.amdhsa_reserve_vcc 1
		.amdhsa_float_round_mode_32 0
		.amdhsa_float_round_mode_16_64 0
		.amdhsa_float_denorm_mode_32 3
		.amdhsa_float_denorm_mode_16_64 3
		.amdhsa_dx10_clamp 1
		.amdhsa_ieee_mode 1
		.amdhsa_fp16_overflow 0
		.amdhsa_workgroup_processor_mode 1
		.amdhsa_memory_ordered 1
		.amdhsa_forward_progress 0
		.amdhsa_shared_vgpr_count 0
		.amdhsa_exception_fp_ieee_invalid_op 0
		.amdhsa_exception_fp_denorm_src 0
		.amdhsa_exception_fp_ieee_div_zero 0
		.amdhsa_exception_fp_ieee_overflow 0
		.amdhsa_exception_fp_ieee_underflow 0
		.amdhsa_exception_fp_ieee_inexact 0
		.amdhsa_exception_int_div_zero 0
	.end_amdhsa_kernel
	.text
.Lfunc_end0:
	.size	fft_rtc_fwd_len2700_factors_3_10_10_3_3_wgs_90_tpt_90_halfLds_dp_op_CI_CI_unitstride_sbrr_dirReg, .Lfunc_end0-fft_rtc_fwd_len2700_factors_3_10_10_3_3_wgs_90_tpt_90_halfLds_dp_op_CI_CI_unitstride_sbrr_dirReg
                                        ; -- End function
	.section	.AMDGPU.csdata,"",@progbits
; Kernel info:
; codeLenInByte = 23180
; NumSgprs: 29
; NumVgprs: 256
; ScratchSize: 0
; MemoryBound: 1
; FloatMode: 240
; IeeeMode: 1
; LDSByteSize: 0 bytes/workgroup (compile time only)
; SGPRBlocks: 3
; VGPRBlocks: 31
; NumSGPRsForWavesPerEU: 29
; NumVGPRsForWavesPerEU: 256
; Occupancy: 5
; WaveLimiterHint : 1
; COMPUTE_PGM_RSRC2:SCRATCH_EN: 0
; COMPUTE_PGM_RSRC2:USER_SGPR: 15
; COMPUTE_PGM_RSRC2:TRAP_HANDLER: 0
; COMPUTE_PGM_RSRC2:TGID_X_EN: 1
; COMPUTE_PGM_RSRC2:TGID_Y_EN: 0
; COMPUTE_PGM_RSRC2:TGID_Z_EN: 0
; COMPUTE_PGM_RSRC2:TIDIG_COMP_CNT: 0
	.text
	.p2alignl 7, 3214868480
	.fill 96, 4, 3214868480
	.type	__hip_cuid_b7d361577599dbaf,@object ; @__hip_cuid_b7d361577599dbaf
	.section	.bss,"aw",@nobits
	.globl	__hip_cuid_b7d361577599dbaf
__hip_cuid_b7d361577599dbaf:
	.byte	0                               ; 0x0
	.size	__hip_cuid_b7d361577599dbaf, 1

	.ident	"AMD clang version 19.0.0git (https://github.com/RadeonOpenCompute/llvm-project roc-6.4.0 25133 c7fe45cf4b819c5991fe208aaa96edf142730f1d)"
	.section	".note.GNU-stack","",@progbits
	.addrsig
	.addrsig_sym __hip_cuid_b7d361577599dbaf
	.amdgpu_metadata
---
amdhsa.kernels:
  - .args:
      - .actual_access:  read_only
        .address_space:  global
        .offset:         0
        .size:           8
        .value_kind:     global_buffer
      - .offset:         8
        .size:           8
        .value_kind:     by_value
      - .actual_access:  read_only
        .address_space:  global
        .offset:         16
        .size:           8
        .value_kind:     global_buffer
      - .actual_access:  read_only
        .address_space:  global
        .offset:         24
        .size:           8
        .value_kind:     global_buffer
      - .actual_access:  read_only
        .address_space:  global
        .offset:         32
        .size:           8
        .value_kind:     global_buffer
      - .offset:         40
        .size:           8
        .value_kind:     by_value
      - .actual_access:  read_only
        .address_space:  global
        .offset:         48
        .size:           8
        .value_kind:     global_buffer
      - .actual_access:  read_only
        .address_space:  global
        .offset:         56
        .size:           8
        .value_kind:     global_buffer
      - .offset:         64
        .size:           4
        .value_kind:     by_value
      - .actual_access:  read_only
        .address_space:  global
        .offset:         72
        .size:           8
        .value_kind:     global_buffer
      - .actual_access:  read_only
        .address_space:  global
        .offset:         80
        .size:           8
        .value_kind:     global_buffer
      - .actual_access:  read_only
        .address_space:  global
        .offset:         88
        .size:           8
        .value_kind:     global_buffer
      - .actual_access:  write_only
        .address_space:  global
        .offset:         96
        .size:           8
        .value_kind:     global_buffer
    .group_segment_fixed_size: 0
    .kernarg_segment_align: 8
    .kernarg_segment_size: 104
    .language:       OpenCL C
    .language_version:
      - 2
      - 0
    .max_flat_workgroup_size: 90
    .name:           fft_rtc_fwd_len2700_factors_3_10_10_3_3_wgs_90_tpt_90_halfLds_dp_op_CI_CI_unitstride_sbrr_dirReg
    .private_segment_fixed_size: 0
    .sgpr_count:     29
    .sgpr_spill_count: 0
    .symbol:         fft_rtc_fwd_len2700_factors_3_10_10_3_3_wgs_90_tpt_90_halfLds_dp_op_CI_CI_unitstride_sbrr_dirReg.kd
    .uniform_work_group_size: 1
    .uses_dynamic_stack: false
    .vgpr_count:     256
    .vgpr_spill_count: 0
    .wavefront_size: 32
    .workgroup_processor_mode: 1
amdhsa.target:   amdgcn-amd-amdhsa--gfx1100
amdhsa.version:
  - 1
  - 2
...

	.end_amdgpu_metadata
